;; amdgpu-corpus repo=ROCm/rocFFT kind=compiled arch=gfx950 opt=O3
	.text
	.amdgcn_target "amdgcn-amd-amdhsa--gfx950"
	.amdhsa_code_object_version 6
	.protected	fft_rtc_fwd_len3600_factors_10_10_6_6_wgs_120_tpt_120_halfLds_sp_op_CI_CI_unitstride_sbrr_R2C_dirReg ; -- Begin function fft_rtc_fwd_len3600_factors_10_10_6_6_wgs_120_tpt_120_halfLds_sp_op_CI_CI_unitstride_sbrr_R2C_dirReg
	.globl	fft_rtc_fwd_len3600_factors_10_10_6_6_wgs_120_tpt_120_halfLds_sp_op_CI_CI_unitstride_sbrr_R2C_dirReg
	.p2align	8
	.type	fft_rtc_fwd_len3600_factors_10_10_6_6_wgs_120_tpt_120_halfLds_sp_op_CI_CI_unitstride_sbrr_R2C_dirReg,@function
fft_rtc_fwd_len3600_factors_10_10_6_6_wgs_120_tpt_120_halfLds_sp_op_CI_CI_unitstride_sbrr_R2C_dirReg: ; @fft_rtc_fwd_len3600_factors_10_10_6_6_wgs_120_tpt_120_halfLds_sp_op_CI_CI_unitstride_sbrr_R2C_dirReg
; %bb.0:
	s_load_dwordx4 s[4:7], s[0:1], 0x58
	s_load_dwordx4 s[8:11], s[0:1], 0x0
	;; [unrolled: 1-line block ×3, first 2 shown]
	v_mul_u32_u24_e32 v1, 0x223, v0
	v_add_u32_sdwa v6, s2, v1 dst_sel:DWORD dst_unused:UNUSED_PAD src0_sel:DWORD src1_sel:WORD_1
	v_mov_b32_e32 v4, 0
	s_waitcnt lgkmcnt(0)
	v_cmp_lt_u64_e64 s[2:3], s[10:11], 2
	v_mov_b32_e32 v7, v4
	s_and_b64 vcc, exec, s[2:3]
	v_mov_b64_e32 v[2:3], 0
	s_cbranch_vccnz .LBB0_8
; %bb.1:
	s_load_dwordx2 s[2:3], s[0:1], 0x10
	s_add_u32 s16, s14, 8
	s_addc_u32 s17, s15, 0
	s_add_u32 s18, s12, 8
	s_addc_u32 s19, s13, 0
	s_waitcnt lgkmcnt(0)
	s_add_u32 s20, s2, 8
	v_mov_b64_e32 v[2:3], 0
	s_addc_u32 s21, s3, 0
	s_mov_b64 s[22:23], 1
	v_mov_b64_e32 v[60:61], v[2:3]
.LBB0_2:                                ; =>This Inner Loop Header: Depth=1
	s_load_dwordx2 s[24:25], s[20:21], 0x0
                                        ; implicit-def: $vgpr64_vgpr65
	s_waitcnt lgkmcnt(0)
	v_or_b32_e32 v5, s25, v7
	v_cmp_ne_u64_e32 vcc, 0, v[4:5]
	s_and_saveexec_b64 s[2:3], vcc
	s_xor_b64 s[26:27], exec, s[2:3]
	s_cbranch_execz .LBB0_4
; %bb.3:                                ;   in Loop: Header=BB0_2 Depth=1
	v_cvt_f32_u32_e32 v1, s24
	v_cvt_f32_u32_e32 v5, s25
	s_sub_u32 s2, 0, s24
	s_subb_u32 s3, 0, s25
	v_fmac_f32_e32 v1, 0x4f800000, v5
	v_rcp_f32_e32 v1, v1
	s_nop 0
	v_mul_f32_e32 v1, 0x5f7ffffc, v1
	v_mul_f32_e32 v5, 0x2f800000, v1
	v_trunc_f32_e32 v5, v5
	v_fmac_f32_e32 v1, 0xcf800000, v5
	v_cvt_u32_f32_e32 v5, v5
	v_cvt_u32_f32_e32 v1, v1
	v_mul_lo_u32 v8, s2, v5
	v_mul_hi_u32 v10, s2, v1
	v_mul_lo_u32 v9, s3, v1
	v_add_u32_e32 v10, v10, v8
	v_mul_lo_u32 v12, s2, v1
	v_add_u32_e32 v13, v10, v9
	v_mul_hi_u32 v8, v1, v12
	v_mul_hi_u32 v11, v1, v13
	v_mul_lo_u32 v10, v1, v13
	v_mov_b32_e32 v9, v4
	v_lshl_add_u64 v[8:9], v[8:9], 0, v[10:11]
	v_mul_hi_u32 v11, v5, v12
	v_mul_lo_u32 v12, v5, v12
	v_add_co_u32_e32 v8, vcc, v8, v12
	v_mul_hi_u32 v10, v5, v13
	s_nop 0
	v_addc_co_u32_e32 v8, vcc, v9, v11, vcc
	v_mov_b32_e32 v9, v4
	s_nop 0
	v_addc_co_u32_e32 v11, vcc, 0, v10, vcc
	v_mul_lo_u32 v10, v5, v13
	v_lshl_add_u64 v[8:9], v[8:9], 0, v[10:11]
	v_add_co_u32_e32 v1, vcc, v1, v8
	v_mul_lo_u32 v10, s2, v1
	s_nop 0
	v_addc_co_u32_e32 v5, vcc, v5, v9, vcc
	v_mul_lo_u32 v8, s2, v5
	v_mul_hi_u32 v9, s2, v1
	v_add_u32_e32 v8, v9, v8
	v_mul_lo_u32 v9, s3, v1
	v_add_u32_e32 v12, v8, v9
	v_mul_hi_u32 v14, v5, v10
	v_mul_lo_u32 v15, v5, v10
	v_mul_hi_u32 v9, v1, v12
	v_mul_lo_u32 v8, v1, v12
	v_mul_hi_u32 v10, v1, v10
	v_mov_b32_e32 v11, v4
	v_lshl_add_u64 v[8:9], v[10:11], 0, v[8:9]
	v_add_co_u32_e32 v8, vcc, v8, v15
	v_mul_hi_u32 v13, v5, v12
	s_nop 0
	v_addc_co_u32_e32 v8, vcc, v9, v14, vcc
	v_mul_lo_u32 v10, v5, v12
	s_nop 0
	v_addc_co_u32_e32 v11, vcc, 0, v13, vcc
	v_mov_b32_e32 v9, v4
	v_lshl_add_u64 v[8:9], v[8:9], 0, v[10:11]
	v_add_co_u32_e32 v1, vcc, v1, v8
	v_mul_hi_u32 v10, v6, v1
	s_nop 0
	v_addc_co_u32_e32 v5, vcc, v5, v9, vcc
	v_mad_u64_u32 v[8:9], s[2:3], v6, v5, 0
	v_mov_b32_e32 v11, v4
	v_lshl_add_u64 v[8:9], v[10:11], 0, v[8:9]
	v_mad_u64_u32 v[12:13], s[2:3], v7, v1, 0
	v_add_co_u32_e32 v1, vcc, v8, v12
	v_mad_u64_u32 v[10:11], s[2:3], v7, v5, 0
	s_nop 0
	v_addc_co_u32_e32 v8, vcc, v9, v13, vcc
	v_mov_b32_e32 v9, v4
	s_nop 0
	v_addc_co_u32_e32 v11, vcc, 0, v11, vcc
	v_lshl_add_u64 v[8:9], v[8:9], 0, v[10:11]
	v_mul_lo_u32 v1, s25, v8
	v_mul_lo_u32 v5, s24, v9
	v_mad_u64_u32 v[10:11], s[2:3], s24, v8, 0
	v_add3_u32 v1, v11, v5, v1
	v_sub_u32_e32 v5, v7, v1
	v_mov_b32_e32 v11, s25
	v_sub_co_u32_e32 v14, vcc, v6, v10
	v_lshl_add_u64 v[12:13], v[8:9], 0, 1
	s_nop 0
	v_subb_co_u32_e64 v5, s[2:3], v5, v11, vcc
	v_subrev_co_u32_e64 v10, s[2:3], s24, v14
	v_subb_co_u32_e32 v1, vcc, v7, v1, vcc
	s_nop 0
	v_subbrev_co_u32_e64 v5, s[2:3], 0, v5, s[2:3]
	v_cmp_le_u32_e64 s[2:3], s25, v5
	v_cmp_le_u32_e32 vcc, s25, v1
	s_nop 0
	v_cndmask_b32_e64 v11, 0, -1, s[2:3]
	v_cmp_le_u32_e64 s[2:3], s24, v10
	s_nop 1
	v_cndmask_b32_e64 v10, 0, -1, s[2:3]
	v_cmp_eq_u32_e64 s[2:3], s25, v5
	s_nop 1
	v_cndmask_b32_e64 v5, v11, v10, s[2:3]
	v_lshl_add_u64 v[10:11], v[8:9], 0, 2
	v_cmp_ne_u32_e64 s[2:3], 0, v5
	s_nop 1
	v_cndmask_b32_e64 v5, v13, v11, s[2:3]
	v_cndmask_b32_e64 v11, 0, -1, vcc
	v_cmp_le_u32_e32 vcc, s24, v14
	s_nop 1
	v_cndmask_b32_e64 v13, 0, -1, vcc
	v_cmp_eq_u32_e32 vcc, s25, v1
	s_nop 1
	v_cndmask_b32_e32 v1, v11, v13, vcc
	v_cmp_ne_u32_e32 vcc, 0, v1
	v_cndmask_b32_e64 v1, v12, v10, s[2:3]
	s_nop 0
	v_cndmask_b32_e32 v65, v9, v5, vcc
	v_cndmask_b32_e32 v64, v8, v1, vcc
.LBB0_4:                                ;   in Loop: Header=BB0_2 Depth=1
	s_andn2_saveexec_b64 s[2:3], s[26:27]
	s_cbranch_execz .LBB0_6
; %bb.5:                                ;   in Loop: Header=BB0_2 Depth=1
	v_cvt_f32_u32_e32 v1, s24
	s_sub_i32 s26, 0, s24
	v_mov_b32_e32 v65, v4
	v_rcp_iflag_f32_e32 v1, v1
	s_nop 0
	v_mul_f32_e32 v1, 0x4f7ffffe, v1
	v_cvt_u32_f32_e32 v1, v1
	v_mul_lo_u32 v5, s26, v1
	v_mul_hi_u32 v5, v1, v5
	v_add_u32_e32 v1, v1, v5
	v_mul_hi_u32 v1, v6, v1
	v_mul_lo_u32 v5, v1, s24
	v_sub_u32_e32 v5, v6, v5
	v_add_u32_e32 v8, 1, v1
	v_subrev_u32_e32 v9, s24, v5
	v_cmp_le_u32_e32 vcc, s24, v5
	s_nop 1
	v_cndmask_b32_e32 v5, v5, v9, vcc
	v_cndmask_b32_e32 v1, v1, v8, vcc
	v_add_u32_e32 v8, 1, v1
	v_cmp_le_u32_e32 vcc, s24, v5
	s_nop 1
	v_cndmask_b32_e32 v64, v1, v8, vcc
.LBB0_6:                                ;   in Loop: Header=BB0_2 Depth=1
	s_or_b64 exec, exec, s[2:3]
	v_mad_u64_u32 v[8:9], s[2:3], v64, s24, 0
	s_load_dwordx2 s[2:3], s[18:19], 0x0
	v_mul_lo_u32 v1, v65, s24
	v_mul_lo_u32 v5, v64, s25
	s_load_dwordx2 s[24:25], s[16:17], 0x0
	s_add_u32 s22, s22, 1
	v_add3_u32 v1, v9, v5, v1
	v_sub_co_u32_e32 v5, vcc, v6, v8
	s_addc_u32 s23, s23, 0
	s_nop 0
	v_subb_co_u32_e32 v1, vcc, v7, v1, vcc
	s_add_u32 s16, s16, 8
	s_waitcnt lgkmcnt(0)
	v_mul_lo_u32 v6, s2, v1
	v_mul_lo_u32 v7, s3, v5
	v_mad_u64_u32 v[2:3], s[2:3], s2, v5, v[2:3]
	s_addc_u32 s17, s17, 0
	v_add3_u32 v3, v7, v3, v6
	v_mul_lo_u32 v1, s24, v1
	v_mul_lo_u32 v6, s25, v5
	v_mad_u64_u32 v[60:61], s[2:3], s24, v5, v[60:61]
	s_add_u32 s18, s18, 8
	v_add3_u32 v61, v6, v61, v1
	s_addc_u32 s19, s19, 0
	v_mov_b64_e32 v[6:7], s[10:11]
	s_add_u32 s20, s20, 8
	v_cmp_ge_u64_e32 vcc, s[22:23], v[6:7]
	s_addc_u32 s21, s21, 0
	s_cbranch_vccnz .LBB0_9
; %bb.7:                                ;   in Loop: Header=BB0_2 Depth=1
	v_mov_b64_e32 v[6:7], v[64:65]
	s_branch .LBB0_2
.LBB0_8:
	v_mov_b64_e32 v[60:61], v[2:3]
	v_mov_b64_e32 v[64:65], v[6:7]
.LBB0_9:
	s_load_dwordx2 s[18:19], s[0:1], 0x28
	s_lshl_b64 s[16:17], s[10:11], 3
	s_add_u32 s2, s14, s16
	s_addc_u32 s3, s15, s17
                                        ; implicit-def: $vgpr68_vgpr69
                                        ; implicit-def: $vgpr62
                                        ; implicit-def: $vgpr66
                                        ; implicit-def: $vgpr70
                                        ; implicit-def: $vgpr72
	s_waitcnt lgkmcnt(0)
	v_cmp_gt_u64_e64 s[0:1], s[18:19], v[64:65]
	v_cmp_le_u64_e32 vcc, s[18:19], v[64:65]
	s_and_saveexec_b64 s[10:11], vcc
	s_xor_b64 s[10:11], exec, s[10:11]
; %bb.10:
	s_mov_b32 s14, 0x2222223
	v_mul_hi_u32 v1, v0, s14
	v_mul_u32_u24_e32 v1, 0x78, v1
	v_sub_u32_e32 v62, v0, v1
	v_add_u32_e32 v69, 0xf0, v62
	v_add_u32_e32 v66, 0x78, v62
	;; [unrolled: 1-line block ×4, first 2 shown]
	v_mov_b32_e32 v72, v69
                                        ; implicit-def: $vgpr0
                                        ; implicit-def: $vgpr2_vgpr3
; %bb.11:
	s_andn2_saveexec_b64 s[10:11], s[10:11]
	s_cbranch_execz .LBB0_13
; %bb.12:
	s_add_u32 s12, s12, s16
	s_addc_u32 s13, s13, s17
	s_load_dwordx2 s[12:13], s[12:13], 0x0
	s_mov_b32 s14, 0x2222223
	s_waitcnt lgkmcnt(0)
	v_mul_lo_u32 v1, s13, v64
	v_mul_lo_u32 v6, s12, v65
	v_mad_u64_u32 v[4:5], s[12:13], s12, v64, 0
	v_add3_u32 v5, v5, v6, v1
	v_mul_hi_u32 v1, v0, s14
	v_mul_u32_u24_e32 v1, 0x78, v1
	v_sub_u32_e32 v62, v0, v1
	v_lshl_add_u64 v[0:1], v[4:5], 3, s[4:5]
	v_lshl_add_u64 v[0:1], v[2:3], 3, v[0:1]
	v_mov_b32_e32 v3, 0
	v_add_u32_e32 v69, 0xf0, v62
	v_lshlrev_b32_e32 v2, 3, v62
	v_mov_b32_e32 v10, v69
	v_mov_b32_e32 v11, v3
	v_lshl_add_u64 v[4:5], v[0:1], 0, v[2:3]
	v_lshl_add_u64 v[10:11], v[10:11], 3, v[0:1]
	s_movk_i32 s4, 0x1000
	global_load_dwordx2 v[6:7], v[4:5], off
	global_load_dwordx2 v[8:9], v[4:5], off offset:960
	global_load_dwordx2 v[14:15], v[10:11], off
	global_load_dwordx2 v[16:17], v[4:5], off offset:3840
	v_add_co_u32_e32 v10, vcc, s4, v4
	s_movk_i32 s5, 0x2000
	s_nop 0
	v_addc_co_u32_e32 v11, vcc, 0, v5, vcc
	v_add_co_u32_e32 v18, vcc, s5, v4
	s_movk_i32 s12, 0x3000
	s_nop 0
	v_addc_co_u32_e32 v19, vcc, 0, v5, vcc
	v_add_u32_e32 v68, 0x168, v62
	v_add_co_u32_e32 v20, vcc, s12, v4
	v_mov_b32_e32 v12, v68
	v_mov_b32_e32 v13, v3
	s_movk_i32 s13, 0x4000
	v_add_u32_e32 v63, 0, v2
	v_or_b32_e32 v2, 0x3c00, v2
	v_addc_co_u32_e32 v21, vcc, 0, v5, vcc
	v_lshl_add_u64 v[12:13], v[12:13], 3, v[0:1]
	v_lshl_add_u64 v[0:1], v[0:1], 0, v[2:3]
	v_add_co_u32_e32 v2, vcc, s13, v4
	s_movk_i32 s14, 0x5000
	s_nop 0
	v_addc_co_u32_e32 v3, vcc, 0, v5, vcc
	global_load_dwordx2 v[24:25], v[12:13], off
	global_load_dwordx2 v[26:27], v[10:11], off offset:704
	global_load_dwordx2 v[28:29], v[10:11], off offset:1664
	;; [unrolled: 1-line block ×13, first 2 shown]
	global_load_dwordx2 v[52:53], v[0:1], off
                                        ; kill: killed $vgpr18 killed $vgpr19
                                        ; kill: killed $vgpr10 killed $vgpr11
                                        ; kill: killed $vgpr0_vgpr1
                                        ; kill: killed $vgpr12_vgpr13
	s_nop 0
	global_load_dwordx2 v[0:1], v[20:21], off offset:4032
	v_add_co_u32_e32 v22, vcc, s14, v4
	v_add_u32_e32 v66, 0x78, v62
	s_nop 0
	v_addc_co_u32_e32 v23, vcc, 0, v5, vcc
	global_load_dwordx2 v[10:11], v[2:3], off offset:2816
	global_load_dwordx2 v[12:13], v[2:3], off offset:3776
	;; [unrolled: 1-line block ×4, first 2 shown]
	v_add_co_u32_e32 v4, vcc, 0x6000, v4
	v_add_u32_e32 v70, 0x1e0, v62
	s_nop 0
	v_addc_co_u32_e32 v5, vcc, 0, v5, vcc
	global_load_dwordx2 v[2:3], v[22:23], off offset:2560
	global_load_dwordx2 v[54:55], v[22:23], off offset:3520
	;; [unrolled: 1-line block ×6, first 2 shown]
	v_lshl_add_u32 v4, v69, 3, 0
	v_lshl_add_u32 v5, v68, 3, 0
	s_waitcnt vmcnt(28)
	ds_write2_b64 v63, v[6:7], v[8:9] offset1:120
	s_waitcnt vmcnt(27)
	ds_write_b64 v4, v[14:15]
	s_waitcnt vmcnt(25)
	ds_write_b64 v5, v[24:25]
	v_add_u32_e32 v4, 0xc00, v63
	s_waitcnt vmcnt(24)
	ds_write2_b64 v4, v[16:17], v[26:27] offset0:96 offset1:216
	v_add_u32_e32 v4, 0x1400, v63
	s_waitcnt vmcnt(22)
	ds_write2_b64 v4, v[28:29], v[30:31] offset0:80 offset1:200
	;; [unrolled: 3-line block ×7, first 2 shown]
	v_add_u32_e32 v0, 0x4000, v63
	ds_write2_b64 v0, v[50:51], v[48:49] offset0:112 offset1:232
	v_add_u32_e32 v0, 0x4800, v63
	s_waitcnt vmcnt(8)
	ds_write2_b64 v0, v[10:11], v[12:13] offset0:96 offset1:216
	v_add_u32_e32 v0, 0x5000, v63
	s_waitcnt vmcnt(6)
	;; [unrolled: 3-line block ×5, first 2 shown]
	ds_write2_b64 v0, v[72:73], v[74:75] offset0:32 offset1:152
	v_mov_b32_e32 v72, v69
.LBB0_13:
	s_or_b64 exec, exec, s[10:11]
	v_lshlrev_b32_e32 v63, 3, v62
	v_add_u32_e32 v74, 0, v63
	v_add_u32_e32 v83, 0x1400, v74
	;; [unrolled: 1-line block ×4, first 2 shown]
	s_load_dwordx2 s[2:3], s[2:3], 0x0
	s_waitcnt lgkmcnt(0)
	s_barrier
	v_add_u32_e32 v80, 0x1c00, v74
	v_add_u32_e32 v79, 0x3400, v74
	ds_read2_b64 v[16:19], v83 offset0:80 offset1:200
	ds_read2_b64 v[28:31], v81 offset0:32 offset1:152
	;; [unrolled: 1-line block ×3, first 2 shown]
	v_add_u32_e32 v71, 0x5800, v74
	ds_read2_b64 v[8:11], v80 offset0:64 offset1:184
	ds_read2_b64 v[12:15], v79 offset0:16 offset1:136
	v_add_u32_e32 v75, 0x4800, v74
	ds_read2_b64 v[24:27], v71 offset0:64 offset1:184
	ds_read2_b64 v[32:35], v75 offset0:96 offset1:216
	v_add_u32_e32 v76, 0x6000, v74
	ds_read2_b64 v[40:43], v76 offset0:48 offset1:168
	v_add_u32_e32 v36, 0x400, v74
	s_waitcnt lgkmcnt(6)
	v_pk_add_f32 v[0:1], v[28:29], v[16:17] neg_lo:[0,1] neg_hi:[0,1]
	s_waitcnt lgkmcnt(2)
	v_pk_add_f32 v[2:3], v[20:21], v[24:25] neg_lo:[0,1] neg_hi:[0,1]
	v_pk_add_f32 v[6:7], v[14:15], v[10:11] neg_lo:[0,1] neg_hi:[0,1]
	v_pk_add_f32 v[4:5], v[0:1], v[2:3]
	ds_read2_b64 v[0:3], v36 offset0:112 offset1:232
	s_waitcnt lgkmcnt(1)
	v_pk_add_f32 v[36:37], v[34:35], v[42:43] neg_lo:[0,1] neg_hi:[0,1]
	s_mov_b32 s10, 0x3f737871
	v_pk_add_f32 v[6:7], v[6:7], v[36:37]
	v_pk_add_f32 v[36:37], v[10:11], v[42:43]
	v_pk_add_f32 v[86:87], v[14:15], v[34:35] neg_lo:[0,1] neg_hi:[0,1]
	s_waitcnt lgkmcnt(0)
	v_pk_fma_f32 v[36:37], v[36:37], 0.5, v[2:3] op_sel_hi:[1,0,1] neg_lo:[1,0,0] neg_hi:[1,0,0]
	v_pk_mul_f32 v[38:39], v[86:87], s[10:11] op_sel_hi:[1,0]
	s_mov_b32 s12, 0x3f167918
	v_pk_add_f32 v[88:89], v[10:11], v[42:43] neg_lo:[0,1] neg_hi:[0,1]
	v_pk_add_f32 v[44:45], v[36:37], v[38:39] op_sel:[0,1] op_sel_hi:[1,0] neg_lo:[0,1] neg_hi:[0,1]
	v_pk_add_f32 v[36:37], v[36:37], v[38:39] op_sel:[0,1] op_sel_hi:[1,0]
	v_pk_mul_f32 v[38:39], v[88:89], s[12:13] op_sel_hi:[1,0]
	s_mov_b32 s4, 0x3e9e377a
	v_pk_add_f32 v[46:47], v[36:37], v[38:39] op_sel:[0,1] op_sel_hi:[1,0] neg_lo:[0,1] neg_hi:[0,1]
	v_pk_add_f32 v[44:45], v[44:45], v[38:39] op_sel:[0,1] op_sel_hi:[1,0]
	v_mov_b32_e32 v37, v47
	v_mov_b32_e32 v36, v44
	v_pk_fma_f32 v[48:49], v[6:7], s[4:5], v[36:37] op_sel_hi:[1,0,1]
	ds_read2_b64 v[36:39], v74 offset1:120
	v_pk_mul_f32 v[50:51], v[48:49], s[10:11] op_sel_hi:[1,0]
	v_pk_add_f32 v[92:93], v[28:29], v[20:21] neg_lo:[0,1] neg_hi:[0,1]
	v_pk_fma_f32 v[90:91], v[48:49], s[4:5], v[50:51] op_sel:[0,0,1] op_sel_hi:[1,0,0]
	v_pk_fma_f32 v[48:49], v[48:49], s[4:5], v[50:51] op_sel:[0,0,1] op_sel_hi:[1,0,0] neg_lo:[0,0,1] neg_hi:[0,0,1]
	v_pk_mul_f32 v[50:51], v[92:93], s[10:11] op_sel_hi:[1,0]
	v_mov_b32_e32 v91, v49
	v_pk_add_f32 v[48:49], v[16:17], v[24:25]
	v_pk_add_f32 v[94:95], v[16:17], v[24:25] neg_lo:[0,1] neg_hi:[0,1]
	s_waitcnt lgkmcnt(0)
	v_pk_fma_f32 v[48:49], v[48:49], 0.5, v[36:37] op_sel_hi:[1,0,1] neg_lo:[1,0,0] neg_hi:[1,0,0]
	v_mov_b32_e32 v47, v45
	v_pk_add_f32 v[52:53], v[48:49], v[50:51] op_sel:[0,1] op_sel_hi:[1,0] neg_lo:[0,1] neg_hi:[0,1]
	v_pk_add_f32 v[48:49], v[48:49], v[50:51] op_sel:[0,1] op_sel_hi:[1,0]
	v_pk_mul_f32 v[50:51], v[94:95], s[12:13] op_sel_hi:[1,0]
	v_pk_fma_f32 v[6:7], v[6:7], s[4:5], v[46:47] op_sel_hi:[1,0,1]
	v_pk_add_f32 v[48:49], v[48:49], v[50:51] op_sel:[0,1] op_sel_hi:[1,0] neg_lo:[0,1] neg_hi:[0,1]
	v_pk_add_f32 v[50:51], v[52:53], v[50:51] op_sel:[0,1] op_sel_hi:[1,0]
	s_mov_b32 s14, 0xbf737871
	s_mov_b32 s15, s10
	v_pk_mul_f32 v[44:45], v[6:7], s[4:5] op_sel_hi:[1,0]
	v_add_u32_e32 v84, 0xc00, v74
	v_pk_fma_f32 v[96:97], v[6:7], s[14:15], v[44:45] op_sel:[0,0,1] op_sel_hi:[1,1,0] neg_lo:[0,0,1] neg_hi:[0,0,1]
	v_mov_b32_e32 v6, v50
	v_mov_b32_e32 v7, v49
	;; [unrolled: 1-line block ×3, first 2 shown]
	v_pk_fma_f32 v[98:99], v[4:5], s[4:5], v[6:7] op_sel_hi:[1,0,1]
	v_pk_fma_f32 v[100:101], v[4:5], s[4:5], v[48:49] op_sel_hi:[1,0,1]
	s_movk_i32 s5, 0x48
	v_mad_u32_u24 v85, v62, s5, v74
	v_pk_add_f32 v[102:103], v[98:99], v[90:91]
	v_pk_add_f32 v[104:105], v[100:101], v[96:97] op_sel:[0,1] op_sel_hi:[1,0]
	v_add_u32_e32 v82, 0x2400, v74
	v_add_u32_e32 v67, 0x3800, v74
	;; [unrolled: 1-line block ×4, first 2 shown]
	ds_read2_b64 v[4:7], v84 offset0:96 offset1:216
	ds_read2_b64 v[56:59], v82 offset0:48 offset1:168
	;; [unrolled: 1-line block ×5, first 2 shown]
	s_waitcnt lgkmcnt(0)
	s_barrier
	ds_write2_b64 v85, v[102:103], v[104:105] offset0:2 offset1:3
	v_pk_add_f32 v[102:103], v[16:17], v[28:29] neg_lo:[0,1] neg_hi:[0,1]
	v_pk_add_f32 v[104:105], v[24:25], v[20:21] neg_lo:[0,1] neg_hi:[0,1]
	v_pk_mul_f32 v[94:95], v[94:95], s[10:11] op_sel_hi:[1,0]
	v_pk_add_f32 v[102:103], v[102:103], v[104:105]
	v_pk_add_f32 v[104:105], v[28:29], v[20:21]
	v_pk_mul_f32 v[92:93], v[92:93], s[12:13] op_sel_hi:[1,0]
	v_pk_fma_f32 v[104:105], v[104:105], 0.5, v[36:37] op_sel_hi:[1,0,1] neg_lo:[1,0,0] neg_hi:[1,0,0]
	v_pk_mul_f32 v[88:89], v[88:89], s[10:11] op_sel_hi:[1,0]
	v_pk_add_f32 v[106:107], v[104:105], v[94:95] op_sel:[0,1] op_sel_hi:[1,0]
	v_pk_add_f32 v[94:95], v[104:105], v[94:95] op_sel:[0,1] op_sel_hi:[1,0] neg_lo:[0,1] neg_hi:[0,1]
	v_pk_add_f32 v[104:105], v[10:11], v[14:15] neg_lo:[0,1] neg_hi:[0,1]
	v_pk_add_f32 v[94:95], v[94:95], v[92:93] op_sel:[0,1] op_sel_hi:[1,0] neg_lo:[0,1] neg_hi:[0,1]
	v_pk_add_f32 v[92:93], v[106:107], v[92:93] op_sel:[0,1] op_sel_hi:[1,0]
	v_pk_add_f32 v[106:107], v[42:43], v[34:35] neg_lo:[0,1] neg_hi:[0,1]
	v_pk_mul_f32 v[86:87], v[86:87], s[12:13] op_sel_hi:[1,0]
	v_pk_add_f32 v[104:105], v[104:105], v[106:107]
	v_pk_add_f32 v[106:107], v[14:15], v[34:35]
	s_mov_b32 s16, 0x3f4f1bbd
	v_pk_fma_f32 v[106:107], v[106:107], 0.5, v[2:3] op_sel_hi:[1,0,1] neg_lo:[1,0,0] neg_hi:[1,0,0]
	v_pk_add_f32 v[16:17], v[36:37], v[16:17]
	v_pk_add_f32 v[108:109], v[106:107], v[88:89] op_sel:[0,1] op_sel_hi:[1,0]
	v_pk_add_f32 v[88:89], v[106:107], v[88:89] op_sel:[0,1] op_sel_hi:[1,0] neg_lo:[0,1] neg_hi:[0,1]
	v_pk_add_f32 v[106:107], v[86:87], v[108:109] op_sel:[1,0] op_sel_hi:[0,1]
	v_pk_add_f32 v[86:87], v[88:89], v[86:87] op_sel:[0,1] op_sel_hi:[1,0] neg_lo:[0,1] neg_hi:[0,1]
	v_pk_add_f32 v[2:3], v[2:3], v[10:11]
	v_pk_fma_f32 v[88:89], v[104:105], s[4:5], v[86:87] op_sel_hi:[1,0,1]
	v_mov_b32_e32 v87, v107
	v_pk_fma_f32 v[86:87], v[104:105], s[4:5], v[86:87] op_sel_hi:[1,0,1]
	v_pk_fma_f32 v[106:107], v[104:105], s[4:5], v[106:107] op_sel_hi:[1,0,1]
	v_pk_mul_f32 v[104:105], v[86:87], s[16:17] op_sel_hi:[1,0]
	s_mov_b32 s17, s12
	v_pk_mul_f32 v[106:107], v[106:107], s[16:17] op_sel_hi:[0,1]
	s_mov_b32 s13, s16
	v_pk_add_f32 v[16:17], v[16:17], v[28:29]
	v_pk_add_f32 v[2:3], v[2:3], v[14:15]
	v_pk_fma_f32 v[108:109], v[88:89], s[12:13], v[106:107] op_sel:[1,0,0]
	v_pk_fma_f32 v[88:89], v[88:89], s[12:13], v[106:107] op_sel:[1,0,0] neg_lo:[0,0,1] neg_hi:[0,0,1]
	v_pk_add_f32 v[16:17], v[16:17], v[20:21]
	v_pk_add_f32 v[2:3], v[2:3], v[34:35]
	v_mov_b32_e32 v10, v92
	v_mov_b32_e32 v11, v95
	;; [unrolled: 1-line block ×3, first 2 shown]
	v_pk_add_f32 v[16:17], v[16:17], v[24:25]
	v_pk_add_f32 v[2:3], v[2:3], v[42:43]
	v_pk_fma_f32 v[10:11], v[102:103], s[4:5], v[10:11] op_sel_hi:[1,0,1]
	v_pk_add_f32 v[14:15], v[16:17], v[2:3]
	v_pk_add_f32 v[20:21], v[10:11], v[108:109]
	v_mov_b32_e32 v95, v93
	s_mov_b32 s18, 0xbf167918
	s_mov_b32 s19, s12
	ds_write2_b64 v85, v[14:15], v[20:21] offset1:1
	v_pk_fma_f32 v[14:15], v[102:103], s[4:5], v[94:95] op_sel_hi:[1,0,1]
	v_pk_fma_f32 v[20:21], v[86:87], s[18:19], v[104:105] op_sel:[0,0,1] op_sel_hi:[1,1,0] neg_lo:[0,0,1] neg_hi:[0,0,1]
	v_pk_add_f32 v[2:3], v[16:17], v[2:3] neg_lo:[0,1] neg_hi:[0,1]
	v_pk_add_f32 v[16:17], v[14:15], v[20:21] op_sel:[1,0] op_sel_hi:[0,1]
	v_mov_b32_e32 v24, v17
	v_mov_b32_e32 v25, v16
	ds_write2_b64 v85, v[24:25], v[2:3] offset0:4 offset1:5
	v_pk_add_f32 v[2:3], v[10:11], v[108:109] neg_lo:[0,1] neg_hi:[0,1]
	v_pk_add_f32 v[10:11], v[98:99], v[90:91] neg_lo:[0,1] neg_hi:[0,1]
	ds_write2_b64 v85, v[2:3], v[10:11] offset0:6 offset1:7
	v_pk_add_f32 v[10:11], v[14:15], v[20:21] op_sel:[1,0] op_sel_hi:[0,1] neg_lo:[0,1] neg_hi:[0,1]
	v_pk_add_f32 v[2:3], v[100:101], v[96:97] op_sel:[0,1] op_sel_hi:[1,0] neg_lo:[0,1] neg_hi:[0,1]
	v_mov_b32_e32 v14, v11
	v_mov_b32_e32 v15, v10
	ds_write2_b64 v85, v[2:3], v[14:15] offset0:8 offset1:9
	v_pk_add_f32 v[2:3], v[0:1], v[8:9]
	v_pk_add_f32 v[10:11], v[12:13], v[32:33]
	;; [unrolled: 1-line block ×3, first 2 shown]
	v_pk_add_f32 v[14:15], v[12:13], v[32:33] neg_lo:[0,1] neg_hi:[0,1]
	v_pk_add_f32 v[2:3], v[2:3], v[32:33]
	v_pk_add_f32 v[24:25], v[40:41], v[32:33] neg_lo:[0,1] neg_hi:[0,1]
	v_pk_add_f32 v[28:29], v[32:33], v[40:41] neg_lo:[0,1] neg_hi:[0,1]
	v_pk_add_f32 v[32:33], v[38:39], v[18:19]
	v_pk_add_f32 v[16:17], v[8:9], v[12:13] neg_lo:[0,1] neg_hi:[0,1]
	v_pk_add_f32 v[32:33], v[32:33], v[30:31]
	;; [unrolled: 2-line block ×4, first 2 shown]
	v_pk_add_f32 v[2:3], v[2:3], v[40:41]
	v_pk_add_f32 v[34:35], v[30:31], v[22:23]
	v_pk_add_f32 v[36:37], v[30:31], v[22:23] neg_lo:[0,1] neg_hi:[0,1]
	v_pk_add_f32 v[40:41], v[18:19], v[30:31] neg_lo:[0,1] neg_hi:[0,1]
	;; [unrolled: 1-line block ×4, first 2 shown]
	v_pk_add_f32 v[18:19], v[18:19], v[26:27]
	v_pk_add_f32 v[86:87], v[26:27], v[22:23] neg_lo:[0,1] neg_hi:[0,1]
	v_pk_add_f32 v[22:23], v[22:23], v[26:27] neg_lo:[0,1] neg_hi:[0,1]
	v_pk_add_f32 v[26:27], v[32:33], v[26:27]
	v_pk_add_f32 v[32:33], v[6:7], v[58:59]
	;; [unrolled: 1-line block ×6, first 2 shown]
	v_pk_add_f32 v[102:103], v[52:53], v[48:49] neg_lo:[0,1] neg_hi:[0,1]
	v_pk_add_f32 v[32:33], v[32:33], v[50:51]
	v_pk_add_f32 v[90:91], v[56:57], v[44:45] neg_lo:[0,1] neg_hi:[0,1]
	v_pk_add_f32 v[94:95], v[52:53], v[56:57] neg_lo:[0,1] neg_hi:[0,1]
	v_pk_add_f32 v[56:57], v[56:57], v[52:53] neg_lo:[0,1] neg_hi:[0,1]
	v_pk_add_f32 v[96:97], v[58:59], v[46:47] neg_lo:[0,1] neg_hi:[0,1]
	v_pk_add_f32 v[98:99], v[58:59], v[46:47]
	v_pk_add_f32 v[100:101], v[54:55], v[58:59] neg_lo:[0,1] neg_hi:[0,1]
	v_pk_add_f32 v[58:59], v[58:59], v[54:55] neg_lo:[0,1] neg_hi:[0,1]
	v_pk_add_f32 v[104:105], v[52:53], v[48:49]
	v_pk_add_f32 v[106:107], v[54:55], v[50:51] neg_lo:[0,1] neg_hi:[0,1]
	v_pk_add_f32 v[54:55], v[54:55], v[50:51]
	v_pk_add_f32 v[52:53], v[88:89], v[48:49]
	v_pk_add_f32 v[108:109], v[50:51], v[46:47] neg_lo:[0,1] neg_hi:[0,1]
	v_pk_add_f32 v[50:51], v[46:47], v[50:51] neg_lo:[0,1] neg_hi:[0,1]
	v_pk_add_f32 v[32:33], v[32:33], v[46:47]
	v_pk_fma_f32 v[34:35], v[34:35], 0.5, v[38:39] op_sel_hi:[1,0,1] neg_lo:[1,0,0] neg_hi:[1,0,0]
	v_pk_fma_f32 v[18:19], v[18:19], 0.5, v[38:39] op_sel_hi:[1,0,1] neg_lo:[1,0,0] neg_hi:[1,0,0]
	v_pk_fma_f32 v[38:39], v[92:93], 0.5, v[4:5] op_sel_hi:[1,0,1] neg_lo:[1,0,0] neg_hi:[1,0,0]
	v_pk_mul_f32 v[46:47], v[102:103], s[10:11] op_sel_hi:[1,0]
	v_pk_add_f32 v[88:89], v[48:49], v[44:45] neg_lo:[0,1] neg_hi:[0,1]
	v_pk_add_f32 v[48:49], v[44:45], v[48:49] neg_lo:[0,1] neg_hi:[0,1]
	v_pk_add_f32 v[44:45], v[52:53], v[44:45]
	v_pk_add_f32 v[52:53], v[38:39], v[46:47] op_sel:[0,1] op_sel_hi:[1,0] neg_lo:[0,1] neg_hi:[0,1]
	v_pk_add_f32 v[38:39], v[38:39], v[46:47] op_sel:[0,1] op_sel_hi:[1,0]
	v_pk_mul_f32 v[46:47], v[90:91], s[12:13] op_sel_hi:[1,0]
	v_pk_add_f32 v[22:23], v[30:31], v[22:23]
	v_pk_add_f32 v[38:39], v[38:39], v[46:47] op_sel:[0,1] op_sel_hi:[1,0] neg_lo:[0,1] neg_hi:[0,1]
	v_pk_add_f32 v[46:47], v[52:53], v[46:47] op_sel:[0,1] op_sel_hi:[1,0]
	v_pk_add_f32 v[30:31], v[94:95], v[88:89]
	v_mov_b32_e32 v52, v46
	v_mov_b32_e32 v53, v39
	v_pk_fma_f32 v[52:53], v[30:31], s[4:5], v[52:53] op_sel_hi:[1,0,1]
	v_mov_b32_e32 v39, v47
	v_pk_mul_f32 v[88:89], v[52:53], s[10:11] op_sel_hi:[1,0]
	v_pk_fma_f32 v[30:31], v[30:31], s[4:5], v[38:39] op_sel_hi:[1,0,1]
	v_pk_fma_f32 v[92:93], v[52:53], s[4:5], v[88:89] op_sel:[0,0,1] op_sel_hi:[1,0,0]
	v_pk_fma_f32 v[52:53], v[52:53], s[4:5], v[88:89] op_sel:[0,0,1] op_sel_hi:[1,0,0] neg_lo:[0,0,1] neg_hi:[0,0,1]
	v_pk_mul_f32 v[38:39], v[30:31], s[4:5] op_sel_hi:[1,0]
	v_mov_b32_e32 v93, v53
	v_pk_mul_f32 v[52:53], v[36:37], s[10:11] op_sel_hi:[1,0]
	v_pk_fma_f32 v[30:31], v[30:31], s[14:15], v[38:39] op_sel:[0,0,1] op_sel_hi:[1,1,0] neg_lo:[0,0,1] neg_hi:[0,0,1]
	v_pk_add_f32 v[88:89], v[18:19], v[52:53] op_sel:[0,1] op_sel_hi:[1,0] neg_lo:[0,1] neg_hi:[0,1]
	v_pk_add_f32 v[18:19], v[18:19], v[52:53] op_sel:[0,1] op_sel_hi:[1,0]
	v_pk_mul_f32 v[52:53], v[42:43], s[12:13] op_sel_hi:[1,0]
	v_pk_mul_f32 v[36:37], v[36:37], s[12:13] op_sel_hi:[1,0]
	v_pk_add_f32 v[18:19], v[18:19], v[52:53] op_sel:[0,1] op_sel_hi:[1,0] neg_lo:[0,1] neg_hi:[0,1]
	v_pk_add_f32 v[52:53], v[88:89], v[52:53] op_sel:[0,1] op_sel_hi:[1,0]
	v_mov_b32_e32 v39, v19
	v_mov_b32_e32 v38, v52
	v_mov_b32_e32 v19, v53
	v_pk_fma_f32 v[38:39], v[22:23], s[4:5], v[38:39] op_sel_hi:[1,0,1]
	v_pk_fma_f32 v[18:19], v[22:23], s[4:5], v[18:19] op_sel_hi:[1,0,1]
	v_mul_i32_i24_e32 v22, 10, v66
	v_lshl_add_u32 v52, v22, 3, 0
	v_pk_add_f32 v[22:23], v[38:39], v[92:93]
	v_pk_add_f32 v[46:47], v[18:19], v[30:31] op_sel:[0,1] op_sel_hi:[1,0]
	ds_write2_b64 v52, v[22:23], v[46:47] offset0:2 offset1:3
	v_pk_add_f32 v[22:23], v[40:41], v[86:87]
	v_pk_mul_f32 v[40:41], v[42:43], s[10:11] op_sel_hi:[1,0]
	v_pk_fma_f32 v[4:5], v[104:105], 0.5, v[4:5] op_sel_hi:[1,0,1] neg_lo:[1,0,0] neg_hi:[1,0,0]
	v_pk_add_f32 v[42:43], v[34:35], v[40:41] op_sel:[0,1] op_sel_hi:[1,0]
	v_pk_add_f32 v[34:35], v[34:35], v[40:41] op_sel:[0,1] op_sel_hi:[1,0] neg_lo:[0,1] neg_hi:[0,1]
	v_pk_add_f32 v[40:41], v[56:57], v[48:49]
	v_pk_add_f32 v[34:35], v[34:35], v[36:37] op_sel:[0,1] op_sel_hi:[1,0] neg_lo:[0,1] neg_hi:[0,1]
	v_pk_add_f32 v[36:37], v[42:43], v[36:37] op_sel:[0,1] op_sel_hi:[1,0]
	v_pk_mul_f32 v[42:43], v[90:91], s[10:11] op_sel_hi:[1,0]
	v_pk_add_f32 v[18:19], v[18:19], v[30:31] op_sel:[0,1] op_sel_hi:[1,0] neg_lo:[0,1] neg_hi:[0,1]
	v_pk_add_f32 v[46:47], v[4:5], v[42:43] op_sel:[0,1] op_sel_hi:[1,0]
	v_pk_add_f32 v[4:5], v[4:5], v[42:43] op_sel:[0,1] op_sel_hi:[1,0] neg_lo:[0,1] neg_hi:[0,1]
	v_pk_mul_f32 v[42:43], v[102:103], s[12:13] op_sel_hi:[1,0]
	v_pk_add_f32 v[16:17], v[16:17], v[24:25]
	v_pk_add_f32 v[46:47], v[42:43], v[46:47] op_sel:[1,0] op_sel_hi:[0,1]
	v_pk_add_f32 v[4:5], v[4:5], v[42:43] op_sel:[0,1] op_sel_hi:[1,0] neg_lo:[0,1] neg_hi:[0,1]
	v_pk_fma_f32 v[42:43], v[40:41], s[4:5], v[46:47] op_sel_hi:[1,0,1]
	v_pk_fma_f32 v[48:49], v[40:41], s[4:5], v[4:5] op_sel_hi:[1,0,1]
	v_pk_mul_f32 v[42:43], v[42:43], s[16:17] op_sel_hi:[0,1]
	v_pk_fma_f32 v[56:57], v[48:49], s[12:13], v[42:43] op_sel:[1,0,0]
	v_pk_fma_f32 v[42:43], v[48:49], s[12:13], v[42:43] op_sel:[1,0,0] neg_lo:[0,0,1] neg_hi:[0,0,1]
	v_mov_b32_e32 v5, v47
	v_mov_b32_e32 v57, v43
	;; [unrolled: 1-line block ×5, first 2 shown]
	v_pk_fma_f32 v[4:5], v[40:41], s[4:5], v[4:5] op_sel_hi:[1,0,1]
	v_pk_fma_f32 v[42:43], v[22:23], s[4:5], v[42:43] op_sel_hi:[1,0,1]
	;; [unrolled: 1-line block ×3, first 2 shown]
	v_pk_mul_f32 v[34:35], v[4:5], s[16:17] op_sel_hi:[1,0]
	v_pk_add_f32 v[48:49], v[26:27], v[44:45]
	v_pk_fma_f32 v[4:5], v[4:5], s[18:19], v[34:35] op_sel:[0,0,1] op_sel_hi:[1,1,0] neg_lo:[0,0,1] neg_hi:[0,0,1]
	v_pk_add_f32 v[26:27], v[26:27], v[44:45] neg_lo:[0,1] neg_hi:[0,1]
	v_pk_add_f32 v[34:35], v[22:23], v[4:5] op_sel:[1,0] op_sel_hi:[0,1]
	v_pk_add_f32 v[4:5], v[22:23], v[4:5] op_sel:[1,0] op_sel_hi:[0,1] neg_lo:[0,1] neg_hi:[0,1]
	v_mov_b32_e32 v22, v5
	v_mov_b32_e32 v23, v4
	ds_write2_b64 v52, v[18:19], v[22:23] offset0:8 offset1:9
	v_pk_fma_f32 v[4:5], v[10:11], 0.5, v[0:1] op_sel_hi:[1,0,1] neg_lo:[1,0,0] neg_hi:[1,0,0]
	v_pk_fma_f32 v[0:1], v[8:9], 0.5, v[0:1] op_sel_hi:[1,0,1] neg_lo:[1,0,0] neg_hi:[1,0,0]
	v_pk_add_f32 v[8:9], v[12:13], v[28:29]
	v_pk_fma_f32 v[12:13], v[98:99], 0.5, v[6:7] op_sel_hi:[1,0,1] neg_lo:[1,0,0] neg_hi:[1,0,0]
	v_pk_mul_f32 v[18:19], v[106:107], s[10:11] op_sel_hi:[1,0]
	v_mov_b32_e32 v36, v35
	v_pk_add_f32 v[22:23], v[12:13], v[18:19] op_sel:[0,1] op_sel_hi:[1,0] neg_lo:[0,1] neg_hi:[0,1]
	v_pk_add_f32 v[12:13], v[12:13], v[18:19] op_sel:[0,1] op_sel_hi:[1,0]
	v_pk_mul_f32 v[18:19], v[96:97], s[12:13] op_sel_hi:[1,0]
	v_mov_b32_e32 v37, v34
	v_pk_add_f32 v[12:13], v[12:13], v[18:19] op_sel:[0,1] op_sel_hi:[1,0] neg_lo:[0,1] neg_hi:[0,1]
	v_pk_add_f32 v[18:19], v[22:23], v[18:19] op_sel:[0,1] op_sel_hi:[1,0]
	v_pk_add_f32 v[10:11], v[100:101], v[108:109]
	v_mov_b32_e32 v22, v18
	v_mov_b32_e32 v23, v13
	ds_write2_b64 v52, v[36:37], v[26:27] offset0:4 offset1:5
	v_pk_add_f32 v[26:27], v[42:43], v[56:57] neg_lo:[0,1] neg_hi:[0,1]
	v_pk_add_f32 v[34:35], v[38:39], v[92:93] neg_lo:[0,1] neg_hi:[0,1]
	v_pk_fma_f32 v[22:23], v[10:11], s[4:5], v[22:23] op_sel_hi:[1,0,1]
	ds_write2_b64 v52, v[26:27], v[34:35] offset0:6 offset1:7
	v_pk_mul_f32 v[26:27], v[22:23], s[10:11] op_sel_hi:[1,0]
	v_mov_b32_e32 v13, v19
	v_pk_fma_f32 v[28:29], v[22:23], s[4:5], v[26:27] op_sel:[0,0,1] op_sel_hi:[1,0,0]
	v_pk_fma_f32 v[22:23], v[22:23], s[4:5], v[26:27] op_sel:[0,0,1] op_sel_hi:[1,0,0] neg_lo:[0,0,1] neg_hi:[0,0,1]
	v_pk_fma_f32 v[10:11], v[10:11], s[4:5], v[12:13] op_sel_hi:[1,0,1]
	v_mov_b32_e32 v29, v23
	v_pk_mul_f32 v[22:23], v[14:15], s[10:11] op_sel_hi:[1,0]
	v_pk_mul_f32 v[12:13], v[10:11], s[4:5] op_sel_hi:[1,0]
	v_pk_add_f32 v[26:27], v[0:1], v[22:23] op_sel:[0,1] op_sel_hi:[1,0] neg_lo:[0,1] neg_hi:[0,1]
	v_pk_add_f32 v[0:1], v[0:1], v[22:23] op_sel:[0,1] op_sel_hi:[1,0]
	v_pk_mul_f32 v[22:23], v[20:21], s[12:13] op_sel_hi:[1,0]
	v_pk_fma_f32 v[10:11], v[10:11], s[14:15], v[12:13] op_sel:[0,0,1] op_sel_hi:[1,1,0] neg_lo:[0,0,1] neg_hi:[0,0,1]
	v_pk_add_f32 v[0:1], v[0:1], v[22:23] op_sel:[0,1] op_sel_hi:[1,0] neg_lo:[0,1] neg_hi:[0,1]
	v_pk_add_f32 v[22:23], v[26:27], v[22:23] op_sel:[0,1] op_sel_hi:[1,0]
	v_mov_b32_e32 v13, v1
	v_mov_b32_e32 v12, v22
	v_mov_b32_e32 v1, v23
	v_pk_fma_f32 v[12:13], v[8:9], s[4:5], v[12:13] op_sel_hi:[1,0,1]
	v_pk_fma_f32 v[0:1], v[8:9], s[4:5], v[0:1] op_sel_hi:[1,0,1]
	v_mul_i32_i24_e32 v8, 10, v72
	v_pk_add_f32 v[86:87], v[42:43], v[56:57]
	v_lshl_add_u32 v53, v8, 3, 0
	v_pk_add_f32 v[8:9], v[12:13], v[28:29]
	v_pk_add_f32 v[18:19], v[0:1], v[10:11] op_sel:[0,1] op_sel_hi:[1,0]
	ds_write2_b64 v52, v[48:49], v[86:87] offset1:1
	ds_write2_b64 v53, v[8:9], v[18:19] offset0:2 offset1:3
	v_pk_mul_f32 v[8:9], v[20:21], s[10:11] op_sel_hi:[1,0]
	v_pk_mul_f32 v[14:15], v[14:15], s[12:13] op_sel_hi:[1,0]
	v_pk_add_f32 v[18:19], v[4:5], v[8:9] op_sel:[0,1] op_sel_hi:[1,0]
	v_pk_add_f32 v[4:5], v[4:5], v[8:9] op_sel:[0,1] op_sel_hi:[1,0] neg_lo:[0,1] neg_hi:[0,1]
	v_pk_fma_f32 v[6:7], v[54:55], 0.5, v[6:7] op_sel_hi:[1,0,1] neg_lo:[1,0,0] neg_hi:[1,0,0]
	v_pk_add_f32 v[4:5], v[4:5], v[14:15] op_sel:[0,1] op_sel_hi:[1,0] neg_lo:[0,1] neg_hi:[0,1]
	v_pk_add_f32 v[14:15], v[18:19], v[14:15] op_sel:[0,1] op_sel_hi:[1,0]
	v_mov_b32_e32 v19, v5
	v_mov_b32_e32 v18, v14
	;; [unrolled: 1-line block ×3, first 2 shown]
	v_pk_mul_f32 v[14:15], v[96:97], s[10:11] op_sel_hi:[1,0]
	v_pk_fma_f32 v[18:19], v[16:17], s[4:5], v[18:19] op_sel_hi:[1,0,1]
	v_pk_fma_f32 v[4:5], v[16:17], s[4:5], v[4:5] op_sel_hi:[1,0,1]
	v_pk_add_f32 v[16:17], v[6:7], v[14:15] op_sel:[0,1] op_sel_hi:[1,0]
	v_pk_mul_f32 v[22:23], v[106:107], s[12:13] op_sel_hi:[1,0]
	v_pk_add_f32 v[6:7], v[6:7], v[14:15] op_sel:[0,1] op_sel_hi:[1,0] neg_lo:[0,1] neg_hi:[0,1]
	v_pk_add_f32 v[20:21], v[58:59], v[50:51]
	v_pk_add_f32 v[16:17], v[22:23], v[16:17] op_sel:[1,0] op_sel_hi:[0,1]
	v_pk_add_f32 v[6:7], v[6:7], v[22:23] op_sel:[0,1] op_sel_hi:[1,0] neg_lo:[0,1] neg_hi:[0,1]
	v_pk_fma_f32 v[24:25], v[20:21], s[4:5], v[16:17] op_sel_hi:[1,0,1]
	v_pk_fma_f32 v[14:15], v[20:21], s[4:5], v[6:7] op_sel_hi:[1,0,1]
	v_mov_b32_e32 v7, v17
	v_pk_fma_f32 v[6:7], v[20:21], s[4:5], v[6:7] op_sel_hi:[1,0,1]
	v_pk_add_f32 v[8:9], v[2:3], v[32:33]
	v_pk_mul_f32 v[16:17], v[6:7], s[16:17] op_sel_hi:[1,0]
	v_pk_add_f32 v[2:3], v[2:3], v[32:33] neg_lo:[0,1] neg_hi:[0,1]
	v_pk_fma_f32 v[6:7], v[6:7], s[18:19], v[16:17] op_sel:[0,0,1] op_sel_hi:[1,1,0] neg_lo:[0,0,1] neg_hi:[0,0,1]
	v_pk_mul_f32 v[16:17], v[24:25], s[16:17] op_sel_hi:[0,1]
	v_pk_fma_f32 v[20:21], v[14:15], s[12:13], v[16:17] op_sel:[1,0,0]
	v_pk_fma_f32 v[14:15], v[14:15], s[12:13], v[16:17] op_sel:[1,0,0] neg_lo:[0,0,1] neg_hi:[0,0,1]
	v_pk_add_f32 v[16:17], v[4:5], v[6:7] op_sel:[1,0] op_sel_hi:[0,1]
	v_mov_b32_e32 v21, v15
	v_pk_add_f32 v[14:15], v[18:19], v[20:21]
	ds_write2_b64 v53, v[8:9], v[14:15] offset1:1
	v_mov_b32_e32 v8, v17
	v_mov_b32_e32 v9, v16
	ds_write2_b64 v53, v[8:9], v[2:3] offset0:4 offset1:5
	v_pk_add_f32 v[2:3], v[18:19], v[20:21] neg_lo:[0,1] neg_hi:[0,1]
	v_pk_add_f32 v[8:9], v[12:13], v[28:29] neg_lo:[0,1] neg_hi:[0,1]
	ds_write2_b64 v53, v[2:3], v[8:9] offset0:6 offset1:7
	v_pk_add_f32 v[2:3], v[4:5], v[6:7] op_sel:[1,0] op_sel_hi:[0,1] neg_lo:[0,1] neg_hi:[0,1]
	v_pk_add_f32 v[0:1], v[0:1], v[10:11] op_sel:[0,1] op_sel_hi:[1,0] neg_lo:[0,1] neg_hi:[0,1]
	v_mov_b32_e32 v4, v3
	v_mov_b32_e32 v5, v2
	s_movk_i32 s5, 0xcd
	ds_write2_b64 v53, v[0:1], v[4:5] offset0:8 offset1:9
	v_mul_lo_u16_sdwa v1, v66, s5 dst_sel:DWORD dst_unused:UNUSED_PAD src0_sel:BYTE_0 src1_sel:DWORD
	s_mov_b32 s11, 0xcccd
	v_lshrrev_b16_e32 v85, 11, v1
	v_mul_u32_u24_sdwa v1, v69, s11 dst_sel:DWORD dst_unused:UNUSED_PAD src0_sel:WORD_0 src1_sel:DWORD
	v_lshrrev_b32_e32 v58, 19, v1
	v_mul_lo_u16_e32 v1, 10, v58
	v_sub_u16_e32 v59, v69, v1
	v_mul_u32_u24_e32 v1, 9, v59
	v_lshlrev_b32_e32 v36, 3, v1
	v_mul_lo_u16_e32 v1, 10, v85
	v_mov_b32_e32 v0, 9
	v_sub_u16_e32 v86, v66, v1
	v_mul_u32_u24_sdwa v1, v86, v0 dst_sel:DWORD dst_unused:UNUSED_PAD src0_sel:BYTE_0 src1_sel:DWORD
	s_waitcnt lgkmcnt(0)
	s_barrier
	global_load_dwordx2 v[22:23], v36, s[8:9] offset:64
	v_lshlrev_b32_e32 v32, 3, v1
	global_load_dwordx2 v[24:25], v32, s[8:9] offset:64
	v_mul_lo_u16_sdwa v1, v62, s5 dst_sel:DWORD dst_unused:UNUSED_PAD src0_sel:BYTE_0 src1_sel:DWORD
	v_lshrrev_b16_e32 v57, 11, v1
	v_mul_lo_u16_e32 v1, 10, v57
	v_sub_u16_e32 v87, v62, v1
	v_mul_u32_u24_sdwa v0, v87, v0 dst_sel:DWORD dst_unused:UNUSED_PAD src0_sel:BYTE_0 src1_sel:DWORD
	v_lshlrev_b32_e32 v37, 3, v0
	global_load_dwordx4 v[0:3], v37, s[8:9]
	global_load_dwordx4 v[4:7], v32, s[8:9]
	;; [unrolled: 1-line block ×3, first 2 shown]
	global_load_dwordx4 v[12:15], v37, s[8:9] offset:16
	global_load_dwordx4 v[16:19], v32, s[8:9] offset:16
	;; [unrolled: 1-line block ×5, first 2 shown]
	ds_read2_b64 v[28:31], v78 offset0:32 offset1:152
	v_lshl_add_u32 v54, v68, 3, 0
	ds_read_b64 v[38:39], v54
	global_load_dwordx4 v[96:99], v32, s[8:9] offset:48
	s_movk_i32 s5, 0xffb8
	v_mad_i32_i24 v56, v66, s5, v52
	v_mad_i32_i24 v55, v72, s5, v53
	s_waitcnt vmcnt(10) lgkmcnt(1)
	v_pk_mul_f32 v[26:27], v[30:31], v[22:23] op_sel:[0,1]
	s_nop 0
	v_pk_fma_f32 v[20:21], v[30:31], v[22:23], v[26:27] op_sel:[0,0,1] op_sel_hi:[1,1,0] neg_lo:[0,0,1] neg_hi:[0,0,1]
	v_pk_fma_f32 v[22:23], v[30:31], v[22:23], v[26:27] op_sel:[0,0,1] op_sel_hi:[1,0,0]
	s_waitcnt vmcnt(9)
	v_pk_mul_f32 v[30:31], v[28:29], v[24:25] op_sel:[0,1]
	s_waitcnt vmcnt(8) lgkmcnt(0)
	v_pk_mul_f32 v[40:41], v[0:1], v[38:39] op_sel:[0,1]
	v_pk_fma_f32 v[26:27], v[28:29], v[24:25], v[30:31] op_sel:[0,0,1] op_sel_hi:[1,1,0] neg_lo:[0,0,1] neg_hi:[0,0,1]
	v_pk_fma_f32 v[28:29], v[28:29], v[24:25], v[30:31] op_sel:[0,0,1] op_sel_hi:[1,0,0]
	ds_read2_b64 v[30:33], v83 offset0:80 offset1:200
	v_pk_fma_f32 v[102:103], v[0:1], v[38:39], v[40:41] op_sel:[0,0,1] op_sel_hi:[1,1,0] neg_lo:[0,0,1] neg_hi:[0,0,1]
	v_pk_fma_f32 v[104:105], v[0:1], v[38:39], v[40:41] op_sel:[0,0,1] op_sel_hi:[1,0,0]
	v_mov_b32_e32 v0, v3
	ds_read_b64 v[34:35], v56
	ds_read_b64 v[24:25], v55
	ds_read_b64 v[100:101], v74
	s_waitcnt lgkmcnt(3)
	v_pk_mul_f32 v[0:1], v[30:31], v[0:1] op_sel_hi:[1,0]
	s_waitcnt vmcnt(7)
	v_mov_b32_e32 v22, v7
	v_pk_fma_f32 v[106:107], v[30:31], v[2:3], v[0:1] op_sel:[0,0,1] op_sel_hi:[1,1,0] neg_lo:[0,0,1] neg_hi:[0,0,1]
	v_pk_fma_f32 v[108:109], v[30:31], v[2:3], v[0:1] op_sel:[0,0,1] op_sel_hi:[1,0,0]
	ds_read2_b64 v[0:3], v84 offset0:96 offset1:216
	v_pk_mul_f32 v[30:31], v[32:33], v[22:23] op_sel_hi:[1,0]
	global_load_dwordx2 v[110:111], v37, s[8:9] offset:64
	v_pk_fma_f32 v[42:43], v[32:33], v[6:7], v[30:31] op_sel:[0,0,1] op_sel_hi:[1,1,0] neg_lo:[0,0,1] neg_hi:[0,0,1]
	v_pk_fma_f32 v[112:113], v[32:33], v[6:7], v[30:31] op_sel:[0,0,1] op_sel_hi:[1,0,0]
	s_waitcnt lgkmcnt(0)
	v_pk_mul_f32 v[6:7], v[0:1], v[4:5] op_sel:[0,1]
	s_waitcnt vmcnt(7)
	v_pk_mul_f32 v[30:31], v[2:3], v[8:9] op_sel:[0,1]
	v_pk_fma_f32 v[40:41], v[0:1], v[4:5], v[6:7] op_sel:[0,0,1] op_sel_hi:[1,1,0] neg_lo:[0,0,1] neg_hi:[0,0,1]
	v_pk_fma_f32 v[114:115], v[0:1], v[4:5], v[6:7] op_sel:[0,0,1] op_sel_hi:[1,0,0]
	ds_read2_b64 v[4:7], v80 offset0:64 offset1:184
	v_pk_fma_f32 v[0:1], v[2:3], v[8:9], v[30:31] op_sel:[0,0,1] op_sel_hi:[1,1,0] neg_lo:[0,0,1] neg_hi:[0,0,1]
	v_pk_fma_f32 v[30:31], v[2:3], v[8:9], v[30:31] op_sel:[0,0,1] op_sel_hi:[1,0,0]
	v_mov_b32_e32 v2, v11
	v_mov_b32_e32 v107, v109
	s_waitcnt lgkmcnt(0)
	v_pk_mul_f32 v[8:9], v[4:5], v[2:3] op_sel_hi:[1,0]
	v_mov_b32_e32 v103, v105
	v_pk_fma_f32 v[2:3], v[4:5], v[10:11], v[8:9] op_sel:[0,0,1] op_sel_hi:[1,1,0] neg_lo:[0,0,1] neg_hi:[0,0,1]
	v_pk_fma_f32 v[32:33], v[4:5], v[10:11], v[8:9] op_sel:[0,0,1] op_sel_hi:[1,0,0]
	ds_read2_b64 v[8:11], v81 offset0:32 offset1:152
	s_waitcnt vmcnt(6)
	v_pk_mul_f32 v[4:5], v[6:7], v[12:13] op_sel:[0,1]
	v_mul_u32_u24_e32 v1, 0x320, v57
	v_pk_fma_f32 v[116:117], v[6:7], v[12:13], v[4:5] op_sel:[0,0,1] op_sel_hi:[1,1,0] neg_lo:[0,0,1] neg_hi:[0,0,1]
	v_pk_fma_f32 v[118:119], v[6:7], v[12:13], v[4:5] op_sel:[0,0,1] op_sel_hi:[1,0,0]
	v_mov_b32_e32 v4, v15
	s_waitcnt lgkmcnt(0)
	v_pk_mul_f32 v[4:5], v[8:9], v[4:5] op_sel_hi:[1,0]
	v_mov_b32_e32 v117, v119
	v_pk_fma_f32 v[120:121], v[8:9], v[14:15], v[4:5] op_sel:[0,0,1] op_sel_hi:[1,1,0] neg_lo:[0,0,1] neg_hi:[0,0,1]
	v_pk_fma_f32 v[122:123], v[8:9], v[14:15], v[4:5] op_sel:[0,0,1] op_sel_hi:[1,0,0]
	ds_read2_b64 v[4:7], v82 offset0:48 offset1:168
	s_waitcnt vmcnt(5)
	v_mov_b32_e32 v8, v19
	v_pk_mul_f32 v[8:9], v[10:11], v[8:9] op_sel_hi:[1,0]
	v_mov_b32_e32 v121, v123
	v_pk_fma_f32 v[50:51], v[10:11], v[18:19], v[8:9] op_sel:[0,0,1] op_sel_hi:[1,1,0] neg_lo:[0,0,1] neg_hi:[0,0,1]
	v_pk_fma_f32 v[124:125], v[10:11], v[18:19], v[8:9] op_sel:[0,0,1] op_sel_hi:[1,0,0]
	s_waitcnt lgkmcnt(0)
	v_pk_mul_f32 v[8:9], v[4:5], v[16:17] op_sel:[0,1]
	s_waitcnt vmcnt(4)
	v_pk_mul_f32 v[12:13], v[6:7], v[44:45] op_sel:[0,1]
	v_pk_fma_f32 v[48:49], v[4:5], v[16:17], v[8:9] op_sel:[0,0,1] op_sel_hi:[1,1,0] neg_lo:[0,0,1] neg_hi:[0,0,1]
	v_pk_fma_f32 v[126:127], v[4:5], v[16:17], v[8:9] op_sel:[0,0,1] op_sel_hi:[1,0,0]
	ds_read2_b64 v[8:11], v79 offset0:16 offset1:136
	v_pk_fma_f32 v[4:5], v[6:7], v[44:45], v[12:13] op_sel:[0,0,1] op_sel_hi:[1,1,0] neg_lo:[0,0,1] neg_hi:[0,0,1]
	v_pk_fma_f32 v[16:17], v[6:7], v[44:45], v[12:13] op_sel:[0,0,1] op_sel_hi:[1,0,0]
	v_mov_b32_e32 v6, v47
	v_mov_b32_e32 v57, 3
	s_waitcnt lgkmcnt(0)
	v_pk_mul_f32 v[12:13], v[8:9], v[6:7] op_sel_hi:[1,0]
	v_lshlrev_b32_sdwa v3, v57, v87 dst_sel:DWORD dst_unused:UNUSED_PAD src0_sel:DWORD src1_sel:BYTE_0
	v_pk_fma_f32 v[6:7], v[8:9], v[46:47], v[12:13] op_sel:[0,0,1] op_sel_hi:[1,1,0] neg_lo:[0,0,1] neg_hi:[0,0,1]
	v_pk_fma_f32 v[18:19], v[8:9], v[46:47], v[12:13] op_sel:[0,0,1] op_sel_hi:[1,0,0]
	global_load_dwordx4 v[44:47], v37, s[8:9] offset:48
	ds_read2_b64 v[12:15], v73 offset0:112 offset1:232
	s_waitcnt vmcnt(4)
	v_pk_mul_f32 v[8:9], v[10:11], v[88:89] op_sel:[0,1]
	v_add3_u32 v1, 0, v1, v3
	v_pk_fma_f32 v[128:129], v[10:11], v[88:89], v[8:9] op_sel:[0,0,1] op_sel_hi:[1,1,0] neg_lo:[0,0,1] neg_hi:[0,0,1]
	v_pk_fma_f32 v[130:131], v[10:11], v[88:89], v[8:9] op_sel:[0,0,1] op_sel_hi:[1,0,0]
	v_mov_b32_e32 v8, v91
	s_waitcnt lgkmcnt(0)
	v_pk_mul_f32 v[8:9], v[12:13], v[8:9] op_sel_hi:[1,0]
	v_mov_b32_e32 v129, v131
	v_pk_fma_f32 v[132:133], v[12:13], v[90:91], v[8:9] op_sel:[0,0,1] op_sel_hi:[1,1,0] neg_lo:[0,0,1] neg_hi:[0,0,1]
	v_pk_fma_f32 v[134:135], v[12:13], v[90:91], v[8:9] op_sel:[0,0,1] op_sel_hi:[1,0,0]
	s_waitcnt vmcnt(3)
	v_mov_b32_e32 v8, v95
	v_pk_mul_f32 v[8:9], v[14:15], v[8:9] op_sel_hi:[1,0]
	v_mov_b32_e32 v133, v135
	v_pk_fma_f32 v[136:137], v[14:15], v[94:95], v[8:9] op_sel:[0,0,1] op_sel_hi:[1,1,0] neg_lo:[0,0,1] neg_hi:[0,0,1]
	v_pk_fma_f32 v[94:95], v[14:15], v[94:95], v[8:9] op_sel:[0,0,1] op_sel_hi:[1,0,0]
	ds_read2_b64 v[8:11], v67 offset0:128 offset1:248
	v_mov_b32_e32 v43, v113
	v_mov_b32_e32 v51, v125
	;; [unrolled: 1-line block ×4, first 2 shown]
	s_waitcnt lgkmcnt(0)
	v_pk_mul_f32 v[12:13], v[8:9], v[92:93] op_sel:[0,1]
	v_pk_add_f32 v[28:29], v[42:43], v[50:51] neg_lo:[0,1] neg_hi:[0,1]
	v_pk_fma_f32 v[138:139], v[8:9], v[92:93], v[12:13] op_sel:[0,0,1] op_sel_hi:[1,1,0] neg_lo:[0,0,1] neg_hi:[0,0,1]
	v_pk_fma_f32 v[92:93], v[8:9], v[92:93], v[12:13] op_sel:[0,0,1] op_sel_hi:[1,0,0]
	global_load_dwordx4 v[12:15], v36, s[8:9] offset:32
	global_load_dwordx4 v[80:83], v36, s[8:9] offset:48
	ds_read2_b64 v[88:91], v75 offset0:96 offset1:216
	v_mov_b32_e32 v49, v127
	v_mov_b32_e32 v139, v93
	;; [unrolled: 1-line block ×3, first 2 shown]
	v_lshlrev_b32_sdwa v3, v57, v86 dst_sel:DWORD dst_unused:UNUSED_PAD src0_sel:DWORD src1_sel:BYTE_0
	v_pk_add_f32 v[86:87], v[40:41], v[48:49]
	v_mov_b32_e32 v5, v17
	v_pk_add_f32 v[86:87], v[86:87], v[138:139]
	v_mov_b32_e32 v7, v19
	v_mov_b32_e32 v21, v23
	v_add_u32_e32 v79, 0x1800, v74
	s_waitcnt vmcnt(2)
	v_mov_b32_e32 v16, v47
	s_waitcnt vmcnt(1)
	v_pk_mul_f32 v[36:37], v[10:11], v[12:13] op_sel:[0,1]
	s_nop 0
	v_pk_fma_f32 v[8:9], v[10:11], v[12:13], v[36:37] op_sel:[0,0,1] op_sel_hi:[1,1,0] neg_lo:[0,0,1] neg_hi:[0,0,1]
	v_pk_fma_f32 v[36:37], v[10:11], v[12:13], v[36:37] op_sel:[0,0,1] op_sel_hi:[1,0,0]
	v_mov_b32_e32 v10, v15
	s_waitcnt lgkmcnt(0)
	v_pk_mul_f32 v[12:13], v[88:89], v[10:11] op_sel_hi:[1,0]
	v_mov_b32_e32 v9, v37
	v_pk_fma_f32 v[10:11], v[88:89], v[14:15], v[12:13] op_sel:[0,0,1] op_sel_hi:[1,1,0] neg_lo:[0,0,1] neg_hi:[0,0,1]
	v_pk_fma_f32 v[38:39], v[88:89], v[14:15], v[12:13] op_sel:[0,0,1] op_sel_hi:[1,0,0]
	v_pk_mul_f32 v[12:13], v[90:91], v[44:45] op_sel:[0,1]
	v_mov_b32_e32 v11, v39
	v_pk_fma_f32 v[140:141], v[90:91], v[44:45], v[12:13] op_sel:[0,0,1] op_sel_hi:[1,1,0] neg_lo:[0,0,1] neg_hi:[0,0,1]
	v_pk_fma_f32 v[142:143], v[90:91], v[44:45], v[12:13] op_sel:[0,0,1] op_sel_hi:[1,0,0]
	ds_read2_b64 v[12:15], v71 offset0:64 offset1:184
	ds_read2_b64 v[88:91], v76 offset0:48 offset1:168
	v_mov_b32_e32 v141, v143
	s_waitcnt lgkmcnt(1)
	v_pk_mul_f32 v[44:45], v[12:13], v[16:17] op_sel_hi:[1,0]
	s_nop 0
	v_pk_fma_f32 v[144:145], v[12:13], v[46:47], v[44:45] op_sel:[0,0,1] op_sel_hi:[1,1,0] neg_lo:[0,0,1] neg_hi:[0,0,1]
	v_pk_fma_f32 v[146:147], v[12:13], v[46:47], v[44:45] op_sel:[0,0,1] op_sel_hi:[1,0,0]
	v_mov_b32_e32 v12, v99
	v_pk_mul_f32 v[12:13], v[14:15], v[12:13] op_sel_hi:[1,0]
	v_mov_b32_e32 v145, v147
	v_pk_fma_f32 v[148:149], v[14:15], v[98:99], v[12:13] op_sel:[0,0,1] op_sel_hi:[1,1,0] neg_lo:[0,0,1] neg_hi:[0,0,1]
	v_pk_fma_f32 v[98:99], v[14:15], v[98:99], v[12:13] op_sel:[0,0,1] op_sel_hi:[1,0,0]
	ds_read2_b64 v[12:15], v77 offset0:80 offset1:200
	s_waitcnt lgkmcnt(0)
	s_barrier
	v_mov_b32_e32 v149, v99
	v_pk_mul_f32 v[44:45], v[12:13], v[96:97] op_sel:[0,1]
	s_nop 0
	v_pk_fma_f32 v[150:151], v[12:13], v[96:97], v[44:45] op_sel:[0,0,1] op_sel_hi:[1,1,0] neg_lo:[0,0,1] neg_hi:[0,0,1]
	v_pk_fma_f32 v[96:97], v[12:13], v[96:97], v[44:45] op_sel:[0,0,1] op_sel_hi:[1,0,0]
	s_waitcnt vmcnt(0)
	v_pk_mul_f32 v[44:45], v[14:15], v[80:81] op_sel:[0,1]
	v_mov_b32_e32 v151, v97
	v_pk_fma_f32 v[12:13], v[14:15], v[80:81], v[44:45] op_sel:[0,0,1] op_sel_hi:[1,1,0] neg_lo:[0,0,1] neg_hi:[0,0,1]
	v_pk_fma_f32 v[44:45], v[14:15], v[80:81], v[44:45] op_sel:[0,0,1] op_sel_hi:[1,0,0]
	v_mov_b32_e32 v14, v83
	v_pk_mul_f32 v[46:47], v[88:89], v[14:15] op_sel_hi:[1,0]
	v_pk_mul_f32 v[80:81], v[90:91], v[110:111] op_sel:[0,1]
	v_pk_fma_f32 v[14:15], v[88:89], v[82:83], v[46:47] op_sel:[0,0,1] op_sel_hi:[1,1,0] neg_lo:[0,0,1] neg_hi:[0,0,1]
	v_pk_fma_f32 v[46:47], v[88:89], v[82:83], v[46:47] op_sel:[0,0,1] op_sel_hi:[1,0,0]
	v_pk_fma_f32 v[82:83], v[90:91], v[110:111], v[80:81] op_sel:[0,0,1] op_sel_hi:[1,1,0] neg_lo:[0,0,1] neg_hi:[0,0,1]
	v_pk_fma_f32 v[80:81], v[90:91], v[110:111], v[80:81] op_sel:[0,0,1] op_sel_hi:[1,0,0]
	v_pk_add_f32 v[88:89], v[144:145], v[132:133] neg_lo:[0,1] neg_hi:[0,1]
	v_mov_b32_e32 v83, v81
	v_pk_add_f32 v[80:81], v[106:107], v[120:121] neg_lo:[0,1] neg_hi:[0,1]
	v_pk_add_f32 v[90:91], v[106:107], v[144:145] neg_lo:[0,1] neg_hi:[0,1]
	v_pk_add_f32 v[80:81], v[80:81], v[88:89]
	v_pk_add_f32 v[88:89], v[120:121], v[132:133]
	v_pk_mul_f32 v[104:105], v[90:91], s[10:11] op_sel_hi:[1,0]
	v_pk_fma_f32 v[88:89], v[88:89], 0.5, v[100:101] op_sel_hi:[1,0,1] neg_lo:[1,0,0] neg_hi:[1,0,0]
	v_pk_add_f32 v[118:119], v[82:83], v[140:141] neg_lo:[0,1] neg_hi:[0,1]
	v_pk_add_f32 v[108:109], v[88:89], v[104:105] op_sel:[0,1] op_sel_hi:[1,0]
	v_pk_add_f32 v[88:89], v[88:89], v[104:105] op_sel:[0,1] op_sel_hi:[1,0] neg_lo:[0,1] neg_hi:[0,1]
	v_pk_add_f32 v[104:105], v[120:121], v[132:133] neg_lo:[0,1] neg_hi:[0,1]
	v_pk_add_f32 v[122:123], v[116:117], v[82:83] neg_lo:[0,1] neg_hi:[0,1]
	v_pk_mul_f32 v[110:111], v[104:105], s[12:13] op_sel_hi:[1,0]
	v_pk_mul_f32 v[130:131], v[122:123], s[10:11] op_sel_hi:[1,0]
	v_pk_add_f32 v[88:89], v[88:89], v[110:111] op_sel:[0,1] op_sel_hi:[1,0] neg_lo:[0,1] neg_hi:[0,1]
	v_pk_add_f32 v[108:109], v[108:109], v[110:111] op_sel:[0,1] op_sel_hi:[1,0]
	v_pk_add_f32 v[110:111], v[116:117], v[128:129] neg_lo:[0,1] neg_hi:[0,1]
	v_mov_b32_e32 v154, v108
	v_pk_add_f32 v[110:111], v[110:111], v[118:119]
	v_pk_add_f32 v[118:119], v[128:129], v[140:141]
	v_mov_b32_e32 v155, v89
	v_pk_fma_f32 v[118:119], v[118:119], 0.5, v[102:103] op_sel_hi:[1,0,1] neg_lo:[1,0,0] neg_hi:[1,0,0]
	v_pk_fma_f32 v[154:155], v[80:81], s[4:5], v[154:155] op_sel_hi:[1,0,1]
	v_pk_add_f32 v[134:135], v[118:119], v[130:131] op_sel:[0,1] op_sel_hi:[1,0]
	v_pk_add_f32 v[118:119], v[118:119], v[130:131] op_sel:[0,1] op_sel_hi:[1,0] neg_lo:[0,1] neg_hi:[0,1]
	v_pk_add_f32 v[130:131], v[128:129], v[140:141] neg_lo:[0,1] neg_hi:[0,1]
	v_pk_mul_f32 v[104:105], v[104:105], s[10:11] op_sel_hi:[1,0]
	v_pk_mul_f32 v[142:143], v[130:131], s[12:13] op_sel_hi:[1,0]
	;; [unrolled: 1-line block ×3, first 2 shown]
	v_pk_add_f32 v[118:119], v[118:119], v[142:143] op_sel:[0,1] op_sel_hi:[1,0] neg_lo:[0,1] neg_hi:[0,1]
	v_pk_add_f32 v[134:135], v[134:135], v[142:143] op_sel:[0,1] op_sel_hi:[1,0]
	v_mov_b32_e32 v143, v119
	v_mov_b32_e32 v142, v134
	v_pk_fma_f32 v[142:143], v[110:111], s[4:5], v[142:143] op_sel_hi:[1,0,1]
	v_mov_b32_e32 v89, v109
	v_pk_mul_f32 v[146:147], v[142:143], s[12:13] op_sel_hi:[1,0]
	v_mov_b32_e32 v119, v135
	v_pk_fma_f32 v[152:153], v[142:143], s[16:17], v[146:147] op_sel:[0,0,1] op_sel_hi:[1,0,0]
	v_pk_fma_f32 v[142:143], v[142:143], s[16:17], v[146:147] op_sel:[0,0,1] op_sel_hi:[1,0,0] neg_lo:[0,0,1] neg_hi:[0,0,1]
	v_pk_add_f32 v[146:147], v[102:103], v[116:117]
	v_mov_b32_e32 v153, v143
	v_pk_add_f32 v[142:143], v[100:101], v[106:107]
	v_pk_add_f32 v[146:147], v[146:147], v[128:129]
	;; [unrolled: 1-line block ×9, first 2 shown]
	ds_write2_b64 v1, v[156:157], v[158:159] offset1:10
	v_pk_add_f32 v[156:157], v[106:107], v[144:145]
	v_pk_add_f32 v[106:107], v[120:121], v[106:107] neg_lo:[0,1] neg_hi:[0,1]
	v_pk_add_f32 v[120:121], v[132:133], v[144:145] neg_lo:[0,1] neg_hi:[0,1]
	v_pk_fma_f32 v[100:101], v[156:157], 0.5, v[100:101] op_sel_hi:[1,0,1] neg_lo:[1,0,0] neg_hi:[1,0,0]
	v_pk_add_f32 v[106:107], v[106:107], v[120:121]
	v_pk_add_f32 v[120:121], v[116:117], v[82:83]
	v_pk_add_f32 v[116:117], v[128:129], v[116:117] neg_lo:[0,1] neg_hi:[0,1]
	v_pk_add_f32 v[82:83], v[140:141], v[82:83] neg_lo:[0,1] neg_hi:[0,1]
	v_pk_fma_f32 v[102:103], v[120:121], 0.5, v[102:103] op_sel_hi:[1,0,1] neg_lo:[1,0,0] neg_hi:[1,0,0]
	v_pk_add_f32 v[82:83], v[116:117], v[82:83]
	v_pk_add_f32 v[116:117], v[100:101], v[104:105] op_sel:[0,1] op_sel_hi:[1,0] neg_lo:[0,1] neg_hi:[0,1]
	v_pk_add_f32 v[100:101], v[100:101], v[104:105] op_sel:[0,1] op_sel_hi:[1,0]
	v_pk_mul_f32 v[104:105], v[130:131], s[10:11] op_sel_hi:[1,0]
	v_pk_add_f32 v[100:101], v[100:101], v[90:91] op_sel:[0,1] op_sel_hi:[1,0] neg_lo:[0,1] neg_hi:[0,1]
	v_pk_add_f32 v[90:91], v[116:117], v[90:91] op_sel:[0,1] op_sel_hi:[1,0]
	v_pk_add_f32 v[116:117], v[102:103], v[104:105] op_sel:[0,1] op_sel_hi:[1,0] neg_lo:[0,1] neg_hi:[0,1]
	v_pk_add_f32 v[102:103], v[102:103], v[104:105] op_sel:[0,1] op_sel_hi:[1,0]
	v_pk_mul_f32 v[104:105], v[122:123], s[12:13] op_sel_hi:[1,0]
	v_pk_fma_f32 v[80:81], v[80:81], s[4:5], v[88:89] op_sel_hi:[1,0,1]
	v_pk_add_f32 v[102:103], v[102:103], v[104:105] op_sel:[0,1] op_sel_hi:[1,0] neg_lo:[0,1] neg_hi:[0,1]
	v_pk_add_f32 v[104:105], v[116:117], v[104:105] op_sel:[0,1] op_sel_hi:[1,0]
	v_mov_b32_e32 v117, v103
	v_mov_b32_e32 v116, v104
	v_pk_fma_f32 v[116:117], v[82:83], s[4:5], v[116:117] op_sel_hi:[1,0,1]
	v_mov_b32_e32 v103, v105
	v_pk_mul_f32 v[120:121], v[116:117], s[10:11] op_sel_hi:[1,0]
	v_pk_fma_f32 v[82:83], v[82:83], s[4:5], v[102:103] op_sel_hi:[1,0,1]
	v_pk_fma_f32 v[122:123], v[116:117], s[4:5], v[120:121] op_sel:[0,0,1] op_sel_hi:[1,0,0]
	v_pk_fma_f32 v[116:117], v[116:117], s[4:5], v[120:121] op_sel:[0,0,1] op_sel_hi:[1,0,0] neg_lo:[0,0,1] neg_hi:[0,0,1]
	v_pk_mul_f32 v[102:103], v[82:83], s[4:5] op_sel_hi:[1,0]
	v_mov_b32_e32 v123, v117
	v_mov_b32_e32 v116, v90
	;; [unrolled: 1-line block ×4, first 2 shown]
	v_pk_fma_f32 v[90:91], v[106:107], s[4:5], v[116:117] op_sel_hi:[1,0,1]
	v_pk_fma_f32 v[100:101], v[106:107], s[4:5], v[100:101] op_sel_hi:[1,0,1]
	v_pk_fma_f32 v[82:83], v[82:83], s[14:15], v[102:103] op_sel:[0,0,1] op_sel_hi:[1,1,0] neg_lo:[0,0,1] neg_hi:[0,0,1]
	v_pk_add_f32 v[102:103], v[90:91], v[122:123]
	v_pk_add_f32 v[104:105], v[100:101], v[82:83] op_sel:[0,1] op_sel_hi:[1,0]
	v_pk_fma_f32 v[88:89], v[110:111], s[4:5], v[118:119] op_sel_hi:[1,0,1]
	ds_write2_b64 v1, v[102:103], v[104:105] offset0:20 offset1:30
	v_pk_mul_f32 v[102:103], v[88:89], s[16:17] op_sel_hi:[1,0]
	v_pk_add_f32 v[82:83], v[100:101], v[82:83] op_sel:[0,1] op_sel_hi:[1,0] neg_lo:[0,1] neg_hi:[0,1]
	v_pk_fma_f32 v[88:89], v[88:89], s[18:19], v[102:103] op_sel:[0,0,1] op_sel_hi:[1,1,0] neg_lo:[0,0,1] neg_hi:[0,0,1]
	v_pk_add_f32 v[102:103], v[142:143], v[146:147] neg_lo:[0,1] neg_hi:[0,1]
	v_pk_add_f32 v[104:105], v[80:81], v[88:89] op_sel:[0,1] op_sel_hi:[1,0]
	v_pk_add_f32 v[80:81], v[80:81], v[88:89] op_sel:[0,1] op_sel_hi:[1,0] neg_lo:[0,1] neg_hi:[0,1]
	ds_write2_b64 v1, v[82:83], v[80:81] offset0:80 offset1:90
	v_pk_add_f32 v[80:81], v[148:149], v[136:137] neg_lo:[0,1] neg_hi:[0,1]
	v_pk_add_f32 v[82:83], v[42:43], v[148:149] neg_lo:[0,1] neg_hi:[0,1]
	v_pk_add_f32 v[28:29], v[28:29], v[80:81]
	v_pk_add_f32 v[80:81], v[50:51], v[136:137]
	ds_write2_b64 v1, v[104:105], v[102:103] offset0:40 offset1:50
	v_pk_add_f32 v[102:103], v[154:155], v[152:153] neg_lo:[0,1] neg_hi:[0,1]
	v_pk_add_f32 v[90:91], v[90:91], v[122:123] neg_lo:[0,1] neg_hi:[0,1]
	v_pk_fma_f32 v[80:81], v[80:81], 0.5, v[34:35] op_sel_hi:[1,0,1] neg_lo:[1,0,0] neg_hi:[1,0,0]
	v_pk_mul_f32 v[88:89], v[82:83], s[10:11] op_sel_hi:[1,0]
	ds_write2_b64 v1, v[102:103], v[90:91] offset0:60 offset1:70
	v_pk_add_f32 v[90:91], v[80:81], v[88:89] op_sel:[0,1] op_sel_hi:[1,0]
	v_pk_add_f32 v[80:81], v[80:81], v[88:89] op_sel:[0,1] op_sel_hi:[1,0] neg_lo:[0,1] neg_hi:[0,1]
	v_pk_add_f32 v[88:89], v[50:51], v[136:137] neg_lo:[0,1] neg_hi:[0,1]
	v_pk_add_f32 v[94:95], v[26:27], v[150:151] neg_lo:[0,1] neg_hi:[0,1]
	v_pk_mul_f32 v[92:93], v[88:89], s[12:13] op_sel_hi:[1,0]
	v_pk_add_f32 v[96:97], v[48:49], v[26:27] neg_lo:[0,1] neg_hi:[0,1]
	v_pk_add_f32 v[80:81], v[80:81], v[92:93] op_sel:[0,1] op_sel_hi:[1,0] neg_lo:[0,1] neg_hi:[0,1]
	v_pk_add_f32 v[90:91], v[90:91], v[92:93] op_sel:[0,1] op_sel_hi:[1,0]
	v_pk_add_f32 v[92:93], v[48:49], v[138:139] neg_lo:[0,1] neg_hi:[0,1]
	v_pk_mul_f32 v[98:99], v[96:97], s[10:11] op_sel_hi:[1,0]
	v_pk_add_f32 v[92:93], v[92:93], v[94:95]
	v_pk_add_f32 v[94:95], v[138:139], v[150:151]
	v_mul_u32_u24_e32 v1, 0x320, v85
	v_pk_fma_f32 v[94:95], v[94:95], 0.5, v[40:41] op_sel_hi:[1,0,1] neg_lo:[1,0,0] neg_hi:[1,0,0]
	v_pk_add_f32 v[84:85], v[34:35], v[42:43]
	v_pk_add_f32 v[100:101], v[94:95], v[98:99] op_sel:[0,1] op_sel_hi:[1,0]
	v_pk_add_f32 v[94:95], v[94:95], v[98:99] op_sel:[0,1] op_sel_hi:[1,0] neg_lo:[0,1] neg_hi:[0,1]
	v_pk_add_f32 v[98:99], v[138:139], v[150:151] neg_lo:[0,1] neg_hi:[0,1]
	v_pk_add_f32 v[84:85], v[84:85], v[50:51]
	v_pk_mul_f32 v[102:103], v[98:99], s[12:13] op_sel_hi:[1,0]
	v_pk_add_f32 v[84:85], v[84:85], v[136:137]
	v_pk_add_f32 v[94:95], v[94:95], v[102:103] op_sel:[0,1] op_sel_hi:[1,0] neg_lo:[0,1] neg_hi:[0,1]
	v_pk_add_f32 v[100:101], v[100:101], v[102:103] op_sel:[0,1] op_sel_hi:[1,0]
	v_mov_b32_e32 v103, v95
	v_mov_b32_e32 v102, v100
	v_pk_fma_f32 v[102:103], v[92:93], s[4:5], v[102:103] op_sel_hi:[1,0,1]
	v_pk_add_f32 v[86:87], v[86:87], v[150:151]
	v_pk_mul_f32 v[104:105], v[102:103], s[12:13] op_sel_hi:[1,0]
	v_pk_add_f32 v[84:85], v[84:85], v[148:149]
	v_pk_fma_f32 v[106:107], v[102:103], s[16:17], v[104:105] op_sel:[0,0,1] op_sel_hi:[1,0,0]
	v_pk_fma_f32 v[102:103], v[102:103], s[16:17], v[104:105] op_sel:[0,0,1] op_sel_hi:[1,0,0] neg_lo:[0,0,1] neg_hi:[0,0,1]
	v_pk_add_f32 v[86:87], v[86:87], v[26:27]
	v_mov_b32_e32 v107, v103
	v_mov_b32_e32 v102, v90
	;; [unrolled: 1-line block ×3, first 2 shown]
	v_pk_fma_f32 v[102:103], v[28:29], s[4:5], v[102:103] op_sel_hi:[1,0,1]
	v_add3_u32 v22, 0, v1, v3
	v_pk_add_f32 v[104:105], v[84:85], v[86:87]
	v_pk_add_f32 v[108:109], v[102:103], v[106:107]
	ds_write2_b64 v22, v[104:105], v[108:109] offset1:10
	v_pk_add_f32 v[104:105], v[42:43], v[148:149]
	v_pk_add_f32 v[42:43], v[50:51], v[42:43] neg_lo:[0,1] neg_hi:[0,1]
	v_pk_add_f32 v[50:51], v[136:137], v[148:149] neg_lo:[0,1] neg_hi:[0,1]
	v_pk_fma_f32 v[34:35], v[104:105], 0.5, v[34:35] op_sel_hi:[1,0,1] neg_lo:[1,0,0] neg_hi:[1,0,0]
	v_pk_add_f32 v[42:43], v[42:43], v[50:51]
	v_pk_add_f32 v[50:51], v[48:49], v[26:27]
	v_pk_add_f32 v[48:49], v[138:139], v[48:49] neg_lo:[0,1] neg_hi:[0,1]
	v_pk_add_f32 v[26:27], v[150:151], v[26:27] neg_lo:[0,1] neg_hi:[0,1]
	v_pk_fma_f32 v[40:41], v[50:51], 0.5, v[40:41] op_sel_hi:[1,0,1] neg_lo:[1,0,0] neg_hi:[1,0,0]
	v_pk_add_f32 v[26:27], v[48:49], v[26:27]
	v_pk_mul_f32 v[48:49], v[88:89], s[10:11] op_sel_hi:[1,0]
	v_mov_b32_e32 v95, v101
	v_pk_add_f32 v[50:51], v[34:35], v[48:49] op_sel:[0,1] op_sel_hi:[1,0] neg_lo:[0,1] neg_hi:[0,1]
	v_pk_add_f32 v[34:35], v[34:35], v[48:49] op_sel:[0,1] op_sel_hi:[1,0]
	v_pk_mul_f32 v[48:49], v[82:83], s[12:13] op_sel_hi:[1,0]
	v_mov_b32_e32 v81, v91
	v_pk_add_f32 v[34:35], v[34:35], v[48:49] op_sel:[0,1] op_sel_hi:[1,0] neg_lo:[0,1] neg_hi:[0,1]
	v_pk_add_f32 v[48:49], v[50:51], v[48:49] op_sel:[0,1] op_sel_hi:[1,0]
	v_pk_mul_f32 v[50:51], v[98:99], s[10:11] op_sel_hi:[1,0]
	v_pk_fma_f32 v[28:29], v[28:29], s[4:5], v[80:81] op_sel_hi:[1,0,1]
	v_pk_add_f32 v[82:83], v[40:41], v[50:51] op_sel:[0,1] op_sel_hi:[1,0] neg_lo:[0,1] neg_hi:[0,1]
	v_pk_add_f32 v[40:41], v[40:41], v[50:51] op_sel:[0,1] op_sel_hi:[1,0]
	v_pk_mul_f32 v[50:51], v[96:97], s[12:13] op_sel_hi:[1,0]
	v_pk_add_f32 v[16:17], v[102:103], v[106:107] neg_lo:[0,1] neg_hi:[0,1]
	v_pk_add_f32 v[40:41], v[40:41], v[50:51] op_sel:[0,1] op_sel_hi:[1,0] neg_lo:[0,1] neg_hi:[0,1]
	v_pk_add_f32 v[50:51], v[82:83], v[50:51] op_sel:[0,1] op_sel_hi:[1,0]
	v_mov_b32_e32 v83, v41
	v_mov_b32_e32 v82, v50
	v_pk_fma_f32 v[82:83], v[26:27], s[4:5], v[82:83] op_sel_hi:[1,0,1]
	v_mov_b32_e32 v41, v51
	v_pk_mul_f32 v[88:89], v[82:83], s[10:11] op_sel_hi:[1,0]
	v_pk_fma_f32 v[26:27], v[26:27], s[4:5], v[40:41] op_sel_hi:[1,0,1]
	v_pk_fma_f32 v[96:97], v[82:83], s[4:5], v[88:89] op_sel:[0,0,1] op_sel_hi:[1,0,0]
	v_pk_fma_f32 v[82:83], v[82:83], s[4:5], v[88:89] op_sel:[0,0,1] op_sel_hi:[1,0,0] neg_lo:[0,0,1] neg_hi:[0,0,1]
	v_pk_mul_f32 v[40:41], v[26:27], s[4:5] op_sel_hi:[1,0]
	v_mov_b32_e32 v97, v83
	v_mov_b32_e32 v82, v48
	;; [unrolled: 1-line block ×4, first 2 shown]
	v_pk_fma_f32 v[48:49], v[42:43], s[4:5], v[82:83] op_sel_hi:[1,0,1]
	v_pk_fma_f32 v[34:35], v[42:43], s[4:5], v[34:35] op_sel_hi:[1,0,1]
	v_pk_fma_f32 v[26:27], v[26:27], s[14:15], v[40:41] op_sel:[0,0,1] op_sel_hi:[1,1,0] neg_lo:[0,0,1] neg_hi:[0,0,1]
	v_pk_add_f32 v[40:41], v[48:49], v[96:97]
	v_pk_add_f32 v[42:43], v[34:35], v[26:27] op_sel:[0,1] op_sel_hi:[1,0]
	ds_write2_b64 v22, v[40:41], v[42:43] offset0:20 offset1:30
	v_pk_fma_f32 v[40:41], v[92:93], s[4:5], v[94:95] op_sel_hi:[1,0,1]
	v_pk_add_f32 v[18:19], v[48:49], v[96:97] neg_lo:[0,1] neg_hi:[0,1]
	v_pk_mul_f32 v[42:43], v[40:41], s[16:17] op_sel_hi:[1,0]
	v_mov_b32_e32 v3, v33
	v_pk_fma_f32 v[40:41], v[40:41], s[18:19], v[42:43] op_sel:[0,0,1] op_sel_hi:[1,1,0] neg_lo:[0,0,1] neg_hi:[0,0,1]
	v_mov_b32_e32 v15, v47
	ds_write2_b64 v22, v[16:17], v[18:19] offset0:60 offset1:70
	v_pk_add_f32 v[16:17], v[34:35], v[26:27] op_sel:[0,1] op_sel_hi:[1,0] neg_lo:[0,1] neg_hi:[0,1]
	v_pk_add_f32 v[18:19], v[28:29], v[40:41] op_sel:[0,1] op_sel_hi:[1,0] neg_lo:[0,1] neg_hi:[0,1]
	v_pk_add_f32 v[42:43], v[84:85], v[86:87] neg_lo:[0,1] neg_hi:[0,1]
	v_pk_add_f32 v[50:51], v[28:29], v[40:41] op_sel:[0,1] op_sel_hi:[1,0]
	ds_write2_b64 v22, v[16:17], v[18:19] offset0:80 offset1:90
	v_pk_add_f32 v[16:17], v[6:7], v[10:11]
	v_pk_add_f32 v[18:19], v[2:3], v[14:15] neg_lo:[0,1] neg_hi:[0,1]
	ds_write2_b64 v22, v[50:51], v[42:43] offset0:40 offset1:50
	v_mov_b32_e32 v1, v31
	v_pk_fma_f32 v[16:17], v[16:17], 0.5, v[24:25] op_sel_hi:[1,0,1] neg_lo:[1,0,0] neg_hi:[1,0,0]
	v_pk_mul_f32 v[22:23], v[18:19], s[10:11] op_sel_hi:[1,0]
	v_pk_add_f32 v[26:27], v[6:7], v[10:11] neg_lo:[0,1] neg_hi:[0,1]
	v_pk_add_f32 v[28:29], v[2:3], v[6:7] neg_lo:[0,1] neg_hi:[0,1]
	;; [unrolled: 1-line block ×3, first 2 shown]
	v_mov_b32_e32 v13, v45
	v_pk_add_f32 v[28:29], v[28:29], v[30:31]
	v_pk_add_f32 v[30:31], v[16:17], v[22:23] op_sel:[0,1] op_sel_hi:[1,0]
	v_pk_add_f32 v[16:17], v[16:17], v[22:23] op_sel:[0,1] op_sel_hi:[1,0] neg_lo:[0,1] neg_hi:[0,1]
	v_pk_mul_f32 v[22:23], v[26:27], s[12:13] op_sel_hi:[1,0]
	v_pk_add_f32 v[32:33], v[20:21], v[12:13] neg_lo:[0,1] neg_hi:[0,1]
	v_pk_add_f32 v[16:17], v[16:17], v[22:23] op_sel:[0,1] op_sel_hi:[1,0] neg_lo:[0,1] neg_hi:[0,1]
	v_pk_add_f32 v[22:23], v[30:31], v[22:23] op_sel:[0,1] op_sel_hi:[1,0]
	v_pk_add_f32 v[30:31], v[4:5], v[8:9] neg_lo:[0,1] neg_hi:[0,1]
	v_pk_add_f32 v[34:35], v[4:5], v[20:21] neg_lo:[0,1] neg_hi:[0,1]
	v_pk_add_f32 v[30:31], v[30:31], v[32:33]
	v_pk_add_f32 v[32:33], v[8:9], v[12:13]
	v_pk_mul_f32 v[36:37], v[34:35], s[10:11] op_sel_hi:[1,0]
	v_pk_fma_f32 v[32:33], v[32:33], 0.5, v[0:1] op_sel_hi:[1,0,1] neg_lo:[1,0,0] neg_hi:[1,0,0]
	v_mov_b32_e32 v46, v22
	v_pk_add_f32 v[38:39], v[32:33], v[36:37] op_sel:[0,1] op_sel_hi:[1,0]
	v_pk_add_f32 v[32:33], v[32:33], v[36:37] op_sel:[0,1] op_sel_hi:[1,0] neg_lo:[0,1] neg_hi:[0,1]
	v_pk_add_f32 v[36:37], v[8:9], v[12:13] neg_lo:[0,1] neg_hi:[0,1]
	v_mov_b32_e32 v47, v17
	v_pk_mul_f32 v[40:41], v[36:37], s[12:13] op_sel_hi:[1,0]
	v_pk_fma_f32 v[46:47], v[28:29], s[4:5], v[46:47] op_sel_hi:[1,0,1]
	v_pk_add_f32 v[32:33], v[32:33], v[40:41] op_sel:[0,1] op_sel_hi:[1,0] neg_lo:[0,1] neg_hi:[0,1]
	v_pk_add_f32 v[38:39], v[38:39], v[40:41] op_sel:[0,1] op_sel_hi:[1,0]
	v_mov_b32_e32 v41, v33
	v_mov_b32_e32 v40, v38
	v_pk_fma_f32 v[40:41], v[30:31], s[4:5], v[40:41] op_sel_hi:[1,0,1]
	v_mul_u32_u24_e32 v33, 0x320, v58
	v_pk_mul_f32 v[42:43], v[40:41], s[12:13] op_sel_hi:[1,0]
	v_lshlrev_b32_e32 v38, 3, v59
	v_pk_fma_f32 v[44:45], v[40:41], s[16:17], v[42:43] op_sel:[0,0,1] op_sel_hi:[1,0,0]
	v_pk_fma_f32 v[40:41], v[40:41], s[16:17], v[42:43] op_sel:[0,0,1] op_sel_hi:[1,0,0] neg_lo:[0,0,1] neg_hi:[0,0,1]
	v_pk_add_f32 v[42:43], v[0:1], v[4:5]
	v_mov_b32_e32 v45, v41
	v_pk_add_f32 v[40:41], v[24:25], v[2:3]
	v_pk_add_f32 v[42:43], v[42:43], v[8:9]
	;; [unrolled: 1-line block ×7, first 2 shown]
	v_add3_u32 v38, 0, v33, v38
	v_pk_add_f32 v[48:49], v[40:41], v[42:43]
	v_pk_add_f32 v[50:51], v[46:47], v[44:45]
	ds_write2_b64 v38, v[48:49], v[50:51] offset1:10
	v_pk_add_f32 v[48:49], v[2:3], v[14:15]
	v_pk_add_f32 v[2:3], v[6:7], v[2:3] neg_lo:[0,1] neg_hi:[0,1]
	v_pk_add_f32 v[6:7], v[10:11], v[14:15] neg_lo:[0,1] neg_hi:[0,1]
	v_pk_fma_f32 v[24:25], v[48:49], 0.5, v[24:25] op_sel_hi:[1,0,1] neg_lo:[1,0,0] neg_hi:[1,0,0]
	v_pk_add_f32 v[2:3], v[2:3], v[6:7]
	v_pk_add_f32 v[6:7], v[4:5], v[20:21]
	v_pk_add_f32 v[4:5], v[8:9], v[4:5] neg_lo:[0,1] neg_hi:[0,1]
	v_pk_fma_f32 v[0:1], v[6:7], 0.5, v[0:1] op_sel_hi:[1,0,1] neg_lo:[1,0,0] neg_hi:[1,0,0]
	v_pk_add_f32 v[6:7], v[12:13], v[20:21] neg_lo:[0,1] neg_hi:[0,1]
	v_pk_mul_f32 v[10:11], v[18:19], s[12:13] op_sel_hi:[1,0]
	v_pk_add_f32 v[4:5], v[4:5], v[6:7]
	v_pk_mul_f32 v[6:7], v[26:27], s[10:11] op_sel_hi:[1,0]
	v_mov_b32_e32 v33, v39
	v_pk_add_f32 v[8:9], v[24:25], v[6:7] op_sel:[0,1] op_sel_hi:[1,0] neg_lo:[0,1] neg_hi:[0,1]
	v_pk_add_f32 v[6:7], v[24:25], v[6:7] op_sel:[0,1] op_sel_hi:[1,0]
	v_pk_add_f32 v[8:9], v[8:9], v[10:11] op_sel:[0,1] op_sel_hi:[1,0]
	v_pk_add_f32 v[6:7], v[6:7], v[10:11] op_sel:[0,1] op_sel_hi:[1,0] neg_lo:[0,1] neg_hi:[0,1]
	v_pk_mul_f32 v[10:11], v[36:37], s[10:11] op_sel_hi:[1,0]
	v_mov_b32_e32 v17, v23
	v_pk_add_f32 v[12:13], v[0:1], v[10:11] op_sel:[0,1] op_sel_hi:[1,0] neg_lo:[0,1] neg_hi:[0,1]
	v_pk_add_f32 v[0:1], v[0:1], v[10:11] op_sel:[0,1] op_sel_hi:[1,0]
	v_pk_mul_f32 v[10:11], v[34:35], s[12:13] op_sel_hi:[1,0]
	v_add_u32_e32 v58, 0x2000, v74
	v_pk_add_f32 v[0:1], v[0:1], v[10:11] op_sel:[0,1] op_sel_hi:[1,0] neg_lo:[0,1] neg_hi:[0,1]
	v_pk_add_f32 v[10:11], v[12:13], v[10:11] op_sel:[0,1] op_sel_hi:[1,0]
	v_mov_b32_e32 v13, v1
	v_mov_b32_e32 v12, v10
	v_pk_fma_f32 v[12:13], v[4:5], s[4:5], v[12:13] op_sel_hi:[1,0,1]
	v_mov_b32_e32 v1, v11
	v_pk_mul_f32 v[14:15], v[12:13], s[10:11] op_sel_hi:[1,0]
	v_pk_fma_f32 v[0:1], v[4:5], s[4:5], v[0:1] op_sel_hi:[1,0,1]
	v_pk_fma_f32 v[18:19], v[12:13], s[4:5], v[14:15] op_sel:[0,0,1] op_sel_hi:[1,0,0]
	v_pk_fma_f32 v[12:13], v[12:13], s[4:5], v[14:15] op_sel:[0,0,1] op_sel_hi:[1,0,0] neg_lo:[0,0,1] neg_hi:[0,0,1]
	v_pk_mul_f32 v[4:5], v[0:1], s[4:5] op_sel_hi:[1,0]
	v_mov_b32_e32 v19, v13
	v_mov_b32_e32 v12, v8
	;; [unrolled: 1-line block ×4, first 2 shown]
	v_pk_fma_f32 v[8:9], v[2:3], s[4:5], v[12:13] op_sel_hi:[1,0,1]
	v_pk_fma_f32 v[2:3], v[2:3], s[4:5], v[6:7] op_sel_hi:[1,0,1]
	v_pk_fma_f32 v[0:1], v[0:1], s[14:15], v[4:5] op_sel:[0,0,1] op_sel_hi:[1,1,0] neg_lo:[0,0,1] neg_hi:[0,0,1]
	v_pk_add_f32 v[6:7], v[8:9], v[18:19]
	v_pk_add_f32 v[4:5], v[2:3], v[0:1] op_sel:[0,1] op_sel_hi:[1,0]
	ds_write2_b64 v38, v[6:7], v[4:5] offset0:20 offset1:30
	v_pk_fma_f32 v[6:7], v[30:31], s[4:5], v[32:33] op_sel_hi:[1,0,1]
	v_pk_fma_f32 v[4:5], v[28:29], s[4:5], v[16:17] op_sel_hi:[1,0,1]
	v_pk_mul_f32 v[10:11], v[6:7], s[16:17] op_sel_hi:[1,0]
	v_pk_add_f32 v[0:1], v[2:3], v[0:1] op_sel:[0,1] op_sel_hi:[1,0] neg_lo:[0,1] neg_hi:[0,1]
	v_pk_fma_f32 v[6:7], v[6:7], s[18:19], v[10:11] op_sel:[0,0,1] op_sel_hi:[1,1,0] neg_lo:[0,0,1] neg_hi:[0,0,1]
	v_pk_add_f32 v[12:13], v[40:41], v[42:43] neg_lo:[0,1] neg_hi:[0,1]
	v_pk_add_f32 v[2:3], v[4:5], v[6:7] op_sel:[0,1] op_sel_hi:[1,0] neg_lo:[0,1] neg_hi:[0,1]
	ds_write2_b64 v38, v[0:1], v[2:3] offset0:80 offset1:90
	v_lshrrev_b16_e32 v0, 2, v70
	v_mul_u32_u24_e32 v0, 0x147b, v0
	v_lshrrev_b32_e32 v80, 17, v0
	v_mul_lo_u16_e32 v0, 0x64, v80
	v_sub_u16_e32 v81, v70, v0
	v_mul_u32_u24_e32 v0, 5, v81
	v_lshlrev_b32_e32 v14, 3, v0
	v_lshrrev_b16_e32 v0, 2, v68
	v_pk_add_f32 v[10:11], v[4:5], v[6:7] op_sel:[0,1] op_sel_hi:[1,0]
	v_mul_u32_u24_e32 v0, 0x147b, v0
	ds_write2_b64 v38, v[10:11], v[12:13] offset0:40 offset1:50
	v_pk_add_f32 v[10:11], v[46:47], v[44:45] neg_lo:[0,1] neg_hi:[0,1]
	v_pk_add_f32 v[8:9], v[8:9], v[18:19] neg_lo:[0,1] neg_hi:[0,1]
	v_lshrrev_b32_e32 v83, 17, v0
	ds_write2_b64 v38, v[10:11], v[8:9] offset0:60 offset1:70
	v_mul_lo_u16_e32 v0, 0x64, v83
	v_lshrrev_b16_e32 v8, 2, v69
	s_waitcnt lgkmcnt(0)
	s_barrier
	global_load_dwordx4 v[4:7], v14, s[8:9] offset:720
	v_sub_u16_e32 v82, v68, v0
	v_mul_u32_u24_e32 v8, 0x147b, v8
	v_mul_u32_u24_e32 v0, 5, v82
	v_lshrrev_b32_e32 v85, 17, v8
	v_lshlrev_b32_e32 v40, 3, v0
	v_mul_lo_u16_e32 v8, 0x64, v85
	global_load_dwordx4 v[0:3], v40, s[8:9] offset:720
	v_sub_u16_e32 v84, v69, v8
	v_mul_u32_u24_e32 v8, 5, v84
	v_lshlrev_b32_e32 v32, 3, v8
	global_load_dwordx4 v[8:11], v32, s[8:9] offset:720
	v_mov_b32_e32 v12, 41
	v_mul_lo_u16_sdwa v12, v66, v12 dst_sel:DWORD dst_unused:UNUSED_PAD src0_sel:BYTE_0 src1_sel:DWORD
	v_lshrrev_b16_e32 v144, 12, v12
	v_mul_lo_u16_e32 v12, 0x64, v144
	v_sub_u16_e32 v145, v66, v12
	v_mov_b32_e32 v12, 5
	v_mul_u32_u24_sdwa v12, v145, v12 dst_sel:DWORD dst_unused:UNUSED_PAD src0_sel:BYTE_0 src1_sel:DWORD
	v_lshlrev_b32_e32 v15, 3, v12
	global_load_dwordx4 v[24:27], v15, s[8:9] offset:720
	s_movk_i32 s4, 0x64
	v_add_u32_e32 v12, 0xffffff9c, v62
	v_cmp_gt_u32_e32 vcc, s4, v62
	v_mov_b32_e32 v13, 0
	v_add_u32_e32 v69, 0x3000, v74
	v_cndmask_b32_e32 v146, v12, v62, vcc
	v_mul_i32_i24_e32 v12, 5, v146
	v_lshl_add_u64 v[102:103], v[12:13], 3, s[8:9]
	global_load_dwordx4 v[28:31], v[102:103], off offset:720
	global_load_dwordx2 v[104:105], v14, s[8:9] offset:752
	global_load_dwordx2 v[106:107], v40, s[8:9] offset:752
	;; [unrolled: 1-line block ×4, first 2 shown]
	global_load_dwordx4 v[44:47], v[102:103], off offset:736
	global_load_dwordx4 v[86:89], v15, s[8:9] offset:736
	global_load_dwordx4 v[90:93], v14, s[8:9] offset:736
	;; [unrolled: 1-line block ×4, first 2 shown]
	ds_read2_b64 v[36:39], v58 offset0:56 offset1:176
	global_load_dwordx2 v[102:103], v[102:103], off offset:752
	ds_read2_b64 v[20:23], v69 offset0:24 offset1:144
	ds_read2_b64 v[32:35], v79 offset0:72 offset1:192
	v_add_u32_e32 v59, 0x2800, v74
	ds_read2_b64 v[48:51], v59 offset0:40 offset1:160
	s_mov_b32 s4, 0x3f5db3d7
	s_mov_b32 s5, 0xbf5db3d7
	s_movk_i32 s10, 0x63
	v_cmp_lt_u32_e32 vcc, s10, v62
	s_mov_b32 s10, 0x5040100
	s_waitcnt vmcnt(14) lgkmcnt(3)
	v_pk_mul_f32 v[16:17], v[36:37], v[4:5] op_sel:[0,1]
	s_nop 0
	v_pk_fma_f32 v[14:15], v[36:37], v[4:5], v[16:17] op_sel:[0,0,1] op_sel_hi:[1,1,0] neg_lo:[0,0,1] neg_hi:[0,0,1]
	v_pk_fma_f32 v[16:17], v[36:37], v[4:5], v[16:17] op_sel:[0,0,1] op_sel_hi:[1,0,0]
	v_mov_b32_e32 v4, v7
	s_waitcnt lgkmcnt(2)
	v_pk_mul_f32 v[18:19], v[22:23], v[4:5] op_sel_hi:[1,0]
	v_lshlrev_b32_e32 v16, 3, v82
	v_pk_fma_f32 v[4:5], v[22:23], v[6:7], v[18:19] op_sel:[0,0,1] op_sel_hi:[1,1,0] neg_lo:[0,0,1] neg_hi:[0,0,1]
	v_pk_fma_f32 v[18:19], v[22:23], v[6:7], v[18:19] op_sel:[0,0,1] op_sel_hi:[1,0,0]
	s_waitcnt vmcnt(13)
	v_mov_b32_e32 v6, v3
	v_pk_mul_f32 v[22:23], v[20:21], v[6:7] op_sel_hi:[1,0]
	v_mov_b32_e32 v15, v17
	v_pk_fma_f32 v[6:7], v[20:21], v[2:3], v[22:23] op_sel:[0,0,1] op_sel_hi:[1,1,0] neg_lo:[0,0,1] neg_hi:[0,0,1]
	v_pk_fma_f32 v[20:21], v[20:21], v[2:3], v[22:23] op_sel:[0,0,1] op_sel_hi:[1,0,0]
	s_waitcnt lgkmcnt(1)
	v_pk_mul_f32 v[22:23], v[34:35], v[0:1] op_sel:[0,1]
	v_lshlrev_b32_e32 v17, 3, v81
	v_pk_fma_f32 v[2:3], v[34:35], v[0:1], v[22:23] op_sel:[0,0,1] op_sel_hi:[1,1,0] neg_lo:[0,0,1] neg_hi:[0,0,1]
	v_pk_fma_f32 v[22:23], v[34:35], v[0:1], v[22:23] op_sel:[0,0,1] op_sel_hi:[1,0,0]
	s_waitcnt vmcnt(12)
	v_pk_mul_f32 v[0:1], v[32:33], v[8:9] op_sel:[0,1]
	v_add_u32_e32 v22, 0x1000, v74
	v_pk_fma_f32 v[34:35], v[32:33], v[8:9], v[0:1] op_sel:[0,0,1] op_sel_hi:[1,1,0] neg_lo:[0,0,1] neg_hi:[0,0,1]
	v_pk_fma_f32 v[40:41], v[32:33], v[8:9], v[0:1] op_sel:[0,0,1] op_sel_hi:[1,0,0]
	v_mov_b32_e32 v0, v11
	s_waitcnt lgkmcnt(0)
	v_pk_mul_f32 v[0:1], v[50:51], v[0:1] op_sel_hi:[1,0]
	v_lshlrev_b32_e32 v3, 3, v146
	v_pk_fma_f32 v[36:37], v[50:51], v[10:11], v[0:1] op_sel:[0,0,1] op_sel_hi:[1,1,0] neg_lo:[0,0,1] neg_hi:[0,0,1]
	v_pk_fma_f32 v[42:43], v[50:51], v[10:11], v[0:1] op_sel:[0,0,1] op_sel_hi:[1,0,0]
	ds_read2_b64 v[8:11], v22 offset0:88 offset1:208
	s_waitcnt vmcnt(11)
	v_mov_b32_e32 v0, v27
	v_pk_mul_f32 v[0:1], v[48:49], v[0:1] op_sel_hi:[1,0]
	v_mov_b32_e32 v37, v43
	v_pk_fma_f32 v[112:113], v[48:49], v[26:27], v[0:1] op_sel:[0,0,1] op_sel_hi:[1,1,0] neg_lo:[0,0,1] neg_hi:[0,0,1]
	v_pk_fma_f32 v[114:115], v[48:49], v[26:27], v[0:1] op_sel:[0,0,1] op_sel_hi:[1,0,0]
	s_waitcnt lgkmcnt(0)
	v_pk_mul_f32 v[0:1], v[10:11], v[24:25] op_sel:[0,1]
	v_mov_b32_e32 v113, v115
	v_pk_fma_f32 v[116:117], v[10:11], v[24:25], v[0:1] op_sel:[0,0,1] op_sel_hi:[1,1,0] neg_lo:[0,0,1] neg_hi:[0,0,1]
	v_pk_fma_f32 v[118:119], v[10:11], v[24:25], v[0:1] op_sel:[0,0,1] op_sel_hi:[1,0,0]
	s_waitcnt vmcnt(10)
	v_pk_mul_f32 v[0:1], v[28:29], v[8:9] op_sel:[0,1]
	ds_read2_b64 v[24:27], v78 offset0:32 offset1:152
	v_pk_fma_f32 v[120:121], v[28:29], v[8:9], v[0:1] op_sel:[0,0,1] op_sel_hi:[1,1,0] neg_lo:[0,0,1] neg_hi:[0,0,1]
	v_pk_fma_f32 v[122:123], v[28:29], v[8:9], v[0:1] op_sel:[0,0,1] op_sel_hi:[1,0,0]
	v_pk_mul_f32 v[0:1], v[30:31], v[38:39] op_sel:[0,1]
	v_mov_b32_e32 v121, v123
	v_pk_fma_f32 v[124:125], v[30:31], v[38:39], v[0:1] op_sel:[0,0,1] op_sel_hi:[1,1,0] neg_lo:[0,0,1] neg_hi:[0,0,1]
	v_pk_fma_f32 v[126:127], v[30:31], v[38:39], v[0:1] op_sel:[0,0,1] op_sel_hi:[1,0,0]
	ds_read2_b64 v[30:33], v76 offset0:48 offset1:168
	s_waitcnt vmcnt(9) lgkmcnt(1)
	v_pk_mul_f32 v[8:9], v[26:27], v[104:105] op_sel:[0,1]
	v_mov_b32_e32 v125, v127
	v_pk_fma_f32 v[0:1], v[26:27], v[104:105], v[8:9] op_sel:[0,0,1] op_sel_hi:[1,1,0] neg_lo:[0,0,1] neg_hi:[0,0,1]
	v_pk_fma_f32 v[28:29], v[26:27], v[104:105], v[8:9] op_sel:[0,0,1] op_sel_hi:[1,0,0]
	s_waitcnt vmcnt(8)
	v_pk_mul_f32 v[8:9], v[24:25], v[106:107] op_sel:[0,1]
	v_mov_b32_e32 v1, 0x12c0
	v_pk_fma_f32 v[10:11], v[24:25], v[106:107], v[8:9] op_sel:[0,0,1] op_sel_hi:[1,1,0] neg_lo:[0,0,1] neg_hi:[0,0,1]
	v_pk_fma_f32 v[26:27], v[24:25], v[106:107], v[8:9] op_sel:[0,0,1] op_sel_hi:[1,0,0]
	s_waitcnt vmcnt(7) lgkmcnt(0)
	v_pk_mul_f32 v[8:9], v[32:33], v[108:109] op_sel:[0,1]
	v_cndmask_b32_e32 v1, 0, v1, vcc
	v_pk_fma_f32 v[50:51], v[32:33], v[108:109], v[8:9] op_sel:[0,0,1] op_sel_hi:[1,1,0] neg_lo:[0,0,1] neg_hi:[0,0,1]
	v_pk_fma_f32 v[104:105], v[32:33], v[108:109], v[8:9] op_sel:[0,0,1] op_sel_hi:[1,0,0]
	s_waitcnt vmcnt(6)
	v_pk_mul_f32 v[8:9], v[30:31], v[110:111] op_sel:[0,1]
	v_add3_u32 v1, 0, v1, v3
	v_pk_fma_f32 v[106:107], v[30:31], v[110:111], v[8:9] op_sel:[0,0,1] op_sel_hi:[1,1,0] neg_lo:[0,0,1] neg_hi:[0,0,1]
	v_pk_fma_f32 v[108:109], v[30:31], v[110:111], v[8:9] op_sel:[0,0,1] op_sel_hi:[1,0,0]
	ds_read2_b32 v[8:9], v67 offset0:16 offset1:17
	ds_read2_b64 v[30:33], v75 offset0:96 offset1:216
	v_add_u32_e32 v3, 0x400, v1
	v_lshl_add_u32 v26, v70, 3, 0
	v_mov_b32_e32 v107, v109
	s_waitcnt lgkmcnt(1)
	v_mov_b32_e32 v12, v9
	s_waitcnt vmcnt(5)
	v_pk_mul_f32 v[24:25], v[12:13], v[44:45] op_sel_hi:[0,1]
	v_pk_fma_f32 v[110:111], v[44:45], v[8:9], v[24:25] op_sel:[0,0,1] op_sel_hi:[1,1,0] neg_lo:[0,0,1] neg_hi:[0,0,1]
	v_pk_fma_f32 v[128:129], v[44:45], v[8:9], v[24:25] op_sel:[0,0,1] op_sel_hi:[1,0,0]
	v_mov_b32_e32 v8, v47
	s_waitcnt lgkmcnt(0)
	v_pk_mul_f32 v[8:9], v[30:31], v[8:9] op_sel_hi:[1,0]
	s_waitcnt vmcnt(3)
	v_mov_b32_e32 v12, v93
	v_pk_fma_f32 v[130:131], v[30:31], v[46:47], v[8:9] op_sel:[0,0,1] op_sel_hi:[1,1,0] neg_lo:[0,0,1] neg_hi:[0,0,1]
	v_pk_fma_f32 v[132:133], v[30:31], v[46:47], v[8:9] op_sel:[0,0,1] op_sel_hi:[1,0,0]
	v_mov_b32_e32 v8, v89
	v_pk_mul_f32 v[8:9], v[32:33], v[8:9] op_sel_hi:[1,0]
	ds_read2_b64 v[44:47], v77 offset0:80 offset1:200
	v_pk_fma_f32 v[134:135], v[32:33], v[88:89], v[8:9] op_sel:[0,0,1] op_sel_hi:[1,1,0] neg_lo:[0,0,1] neg_hi:[0,0,1]
	v_pk_fma_f32 v[136:137], v[32:33], v[88:89], v[8:9] op_sel:[0,0,1] op_sel_hi:[1,0,0]
	ds_read2_b64 v[30:33], v67 offset0:128 offset1:248
	v_mov_b32_e32 v131, v133
	v_mov_b32_e32 v111, v129
	;; [unrolled: 1-line block ×4, first 2 shown]
	s_waitcnt lgkmcnt(0)
	v_pk_mul_f32 v[8:9], v[30:31], v[86:87] op_sel:[0,1]
	v_mov_b32_e32 v35, v41
	v_pk_fma_f32 v[138:139], v[30:31], v[86:87], v[8:9] op_sel:[0,0,1] op_sel_hi:[1,1,0] neg_lo:[0,0,1] neg_hi:[0,0,1]
	v_pk_fma_f32 v[140:141], v[30:31], v[86:87], v[8:9] op_sel:[0,0,1] op_sel_hi:[1,0,0]
	s_waitcnt vmcnt(2)
	v_pk_mul_f32 v[8:9], v[32:33], v[94:95] op_sel:[0,1]
	ds_read2_b64 v[86:89], v71 offset0:64 offset1:184
	v_pk_fma_f32 v[142:143], v[32:33], v[94:95], v[8:9] op_sel:[0,0,1] op_sel_hi:[1,1,0] neg_lo:[0,0,1] neg_hi:[0,0,1]
	v_pk_fma_f32 v[94:95], v[32:33], v[94:95], v[8:9] op_sel:[0,0,1] op_sel_hi:[1,0,0]
	v_mov_b32_e32 v8, v97
	v_pk_mul_f32 v[8:9], v[44:45], v[8:9] op_sel_hi:[1,0]
	s_waitcnt lgkmcnt(0)
	v_pk_mul_f32 v[48:49], v[86:87], v[12:13] op_sel_hi:[1,0]
	v_pk_fma_f32 v[76:77], v[44:45], v[96:97], v[8:9] op_sel:[0,0,1] op_sel_hi:[1,1,0] neg_lo:[0,0,1] neg_hi:[0,0,1]
	v_pk_fma_f32 v[96:97], v[44:45], v[96:97], v[8:9] op_sel:[0,0,1] op_sel_hi:[1,0,0]
	s_waitcnt vmcnt(1)
	v_mov_b32_e32 v8, v101
	v_pk_mul_f32 v[8:9], v[46:47], v[8:9] op_sel_hi:[1,0]
	v_mov_b32_e32 v139, v141
	v_pk_fma_f32 v[32:33], v[46:47], v[100:101], v[8:9] op_sel:[0,0,1] op_sel_hi:[1,1,0] neg_lo:[0,0,1] neg_hi:[0,0,1]
	v_pk_fma_f32 v[38:39], v[46:47], v[100:101], v[8:9] op_sel:[0,0,1] op_sel_hi:[1,0,0]
	ds_read2_b64 v[44:47], v73 offset0:112 offset1:232
	v_mov_b32_e32 v77, v97
	v_pk_add_f32 v[40:41], v[36:37], v[76:77]
	v_mov_b32_e32 v143, v95
	v_mov_b32_e32 v51, v105
	s_waitcnt lgkmcnt(0)
	v_pk_mul_f32 v[8:9], v[44:45], v[98:99] op_sel:[0,1]
	v_pk_mul_f32 v[24:25], v[46:47], v[90:91] op_sel:[0,1]
	v_pk_fma_f32 v[30:31], v[44:45], v[98:99], v[8:9] op_sel:[0,0,1] op_sel_hi:[1,1,0] neg_lo:[0,0,1] neg_hi:[0,0,1]
	v_pk_fma_f32 v[44:45], v[44:45], v[98:99], v[8:9] op_sel:[0,0,1] op_sel_hi:[1,0,0]
	v_pk_fma_f32 v[8:9], v[46:47], v[90:91], v[24:25] op_sel:[0,0,1] op_sel_hi:[1,1,0] neg_lo:[0,0,1] neg_hi:[0,0,1]
	v_pk_fma_f32 v[46:47], v[46:47], v[90:91], v[24:25] op_sel:[0,0,1] op_sel_hi:[1,0,0]
	;; [unrolled: 2-line block ×3, first 2 shown]
	s_waitcnt vmcnt(0)
	v_pk_mul_f32 v[86:87], v[88:89], v[102:103] op_sel:[0,1]
	v_pk_add_f32 v[98:99], v[124:125], v[130:131] neg_lo:[0,1] neg_hi:[0,1]
	v_pk_fma_f32 v[90:91], v[88:89], v[102:103], v[86:87] op_sel:[0,0,1] op_sel_hi:[1,1,0] neg_lo:[0,0,1] neg_hi:[0,0,1]
	v_pk_fma_f32 v[86:87], v[88:89], v[102:103], v[86:87] op_sel:[0,0,1] op_sel_hi:[1,0,0]
	v_pk_add_f32 v[88:89], v[124:125], v[130:131]
	v_mov_b32_e32 v91, v87
	ds_read_b64 v[86:87], v74
	ds_read_b64 v[92:93], v54
	v_pk_mul_f32 v[98:99], v[98:99], s[4:5] op_sel_hi:[1,0]
	v_pk_add_f32 v[102:103], v[120:121], v[110:111]
	v_mov_b32_e32 v7, v21
	s_waitcnt lgkmcnt(1)
	v_pk_fma_f32 v[88:89], v[88:89], 0.5, v[86:87] op_sel_hi:[1,0,1] neg_lo:[1,0,0] neg_hi:[1,0,0]
	v_pk_add_f32 v[102:103], v[102:103], v[90:91]
	v_pk_add_f32 v[100:101], v[98:99], v[88:89] op_sel:[1,0] op_sel_hi:[0,1]
	v_pk_add_f32 v[88:89], v[88:89], v[98:99] op_sel:[0,1] op_sel_hi:[1,0] neg_lo:[0,1] neg_hi:[0,1]
	v_pk_add_f32 v[98:99], v[110:111], v[90:91]
	v_pk_add_f32 v[90:91], v[110:111], v[90:91] neg_lo:[0,1] neg_hi:[0,1]
	v_pk_fma_f32 v[98:99], v[98:99], 0.5, v[120:121] op_sel_hi:[1,0,1] neg_lo:[1,0,0] neg_hi:[1,0,0]
	v_pk_add_f32 v[86:87], v[86:87], v[124:125]
	v_pk_fma_f32 v[110:111], v[90:91], s[4:5], v[98:99] op_sel:[0,0,1] op_sel_hi:[1,0,0]
	v_pk_fma_f32 v[90:91], v[90:91], s[4:5], v[98:99] op_sel:[0,0,1] op_sel_hi:[1,0,0] neg_lo:[1,0,0] neg_hi:[1,0,0]
	v_mov_b32_e32 v98, v110
	v_mov_b32_e32 v99, v91
	v_pk_mul_f32 v[120:121], v[98:99], 0.5 op_sel_hi:[1,0]
	v_pk_add_f32 v[86:87], v[86:87], v[130:131]
	v_pk_fma_f32 v[98:99], v[98:99], s[4:5], v[120:121] op_sel:[0,0,1] op_sel_hi:[1,1,0] neg_lo:[0,0,1] neg_hi:[0,0,1]
	v_mov_b32_e32 v126, v88
	v_mov_b32_e32 v127, v101
	v_pk_add_f32 v[128:129], v[126:127], v[98:99]
	v_pk_add_f32 v[130:131], v[86:87], v[102:103] neg_lo:[0,1] neg_hi:[0,1]
	ds_read_b64 v[120:121], v56
	ds_read_b64 v[122:123], v26
	;; [unrolled: 1-line block ×3, first 2 shown]
	s_waitcnt lgkmcnt(0)
	s_barrier
	ds_write2_b64 v3, v[128:129], v[130:131] offset0:72 offset1:172
	v_mul_f32_e32 v3, 0x3f5db3d7, v90
	v_mul_f32_e32 v5, 0xbf5db3d7, v111
	v_fmac_f32_e32 v3, 0.5, v111
	v_fmac_f32_e32 v5, 0.5, v90
	v_pk_add_f32 v[86:87], v[86:87], v[102:103]
	v_add_f32_e32 v90, v100, v3
	v_add_f32_e32 v91, v89, v5
	ds_write2_b64 v1, v[86:87], v[90:91] offset1:100
	v_sub_f32_e32 v86, v100, v3
	v_sub_f32_e32 v87, v89, v5
	v_pk_add_f32 v[88:89], v[126:127], v[98:99] neg_lo:[0,1] neg_hi:[0,1]
	v_add_u32_e32 v1, 0x800, v1
	ds_write2_b64 v1, v[86:87], v[88:89] offset0:144 offset1:244
	v_pk_add_f32 v[86:87], v[112:113], v[134:135]
	v_pk_add_f32 v[90:91], v[112:113], v[134:135] neg_lo:[0,1] neg_hi:[0,1]
	v_pk_fma_f32 v[86:87], v[86:87], 0.5, v[120:121] op_sel_hi:[1,0,1] neg_lo:[1,0,0] neg_hi:[1,0,0]
	v_pk_mul_f32 v[90:91], v[90:91], s[4:5] op_sel_hi:[1,0]
	v_pk_add_f32 v[100:101], v[116:117], v[138:139]
	v_pk_add_f32 v[98:99], v[90:91], v[86:87] op_sel:[1,0] op_sel_hi:[0,1]
	v_pk_add_f32 v[86:87], v[86:87], v[90:91] op_sel:[0,1] op_sel_hi:[1,0] neg_lo:[0,1] neg_hi:[0,1]
	v_pk_add_f32 v[90:91], v[138:139], v[106:107]
	v_pk_add_f32 v[102:103], v[138:139], v[106:107] neg_lo:[0,1] neg_hi:[0,1]
	v_pk_fma_f32 v[90:91], v[90:91], 0.5, v[116:117] op_sel_hi:[1,0,1] neg_lo:[1,0,0] neg_hi:[1,0,0]
	v_pk_add_f32 v[100:101], v[100:101], v[106:107]
	v_pk_fma_f32 v[106:107], v[102:103], s[4:5], v[90:91] op_sel:[0,0,1] op_sel_hi:[1,0,0]
	v_pk_fma_f32 v[90:91], v[102:103], s[4:5], v[90:91] op_sel:[0,0,1] op_sel_hi:[1,0,0] neg_lo:[1,0,0] neg_hi:[1,0,0]
	v_mov_b32_e32 v102, v106
	v_mov_b32_e32 v103, v91
	v_pk_add_f32 v[88:89], v[120:121], v[112:113]
	v_pk_mul_f32 v[108:109], v[102:103], 0.5 op_sel_hi:[1,0]
	v_lshlrev_b32_sdwa v1, v57, v145 dst_sel:DWORD dst_unused:UNUSED_PAD src0_sel:DWORD src1_sel:BYTE_0
	v_mul_u32_u24_e32 v3, 0x12c0, v144
	v_pk_add_f32 v[88:89], v[88:89], v[134:135]
	v_pk_fma_f32 v[102:103], v[102:103], s[4:5], v[108:109] op_sel:[0,0,1] op_sel_hi:[1,1,0] neg_lo:[0,0,1] neg_hi:[0,0,1]
	v_add3_u32 v1, 0, v3, v1
	v_mov_b32_e32 v108, v86
	v_mov_b32_e32 v109, v99
	v_add_u32_e32 v3, 0x400, v1
	v_pk_add_f32 v[110:111], v[108:109], v[102:103]
	v_pk_add_f32 v[112:113], v[88:89], v[100:101] neg_lo:[0,1] neg_hi:[0,1]
	v_pk_add_f32 v[42:43], v[124:125], v[36:37]
	v_pk_add_f32 v[36:37], v[36:37], v[76:77] neg_lo:[0,1] neg_hi:[0,1]
	ds_write2_b64 v3, v[110:111], v[112:113] offset0:72 offset1:172
	v_mul_f32_e32 v3, 0x3f5db3d7, v90
	v_mul_f32_e32 v5, 0xbf5db3d7, v107
	v_pk_fma_f32 v[40:41], v[40:41], 0.5, v[124:125] op_sel_hi:[1,0,1] neg_lo:[1,0,0] neg_hi:[1,0,0]
	v_pk_mul_f32 v[36:37], v[36:37], s[4:5] op_sel_hi:[1,0]
	v_fmac_f32_e32 v3, 0.5, v107
	v_fmac_f32_e32 v5, 0.5, v90
	v_pk_add_f32 v[42:43], v[42:43], v[76:77]
	v_pk_add_f32 v[76:77], v[36:37], v[40:41] op_sel:[1,0] op_sel_hi:[0,1]
	v_pk_add_f32 v[36:37], v[40:41], v[36:37] op_sel:[0,1] op_sel_hi:[1,0] neg_lo:[0,1] neg_hi:[0,1]
	v_pk_add_f32 v[40:41], v[142:143], v[50:51]
	v_pk_add_f32 v[88:89], v[88:89], v[100:101]
	v_add_f32_e32 v90, v98, v3
	v_add_f32_e32 v91, v87, v5
	v_pk_fma_f32 v[40:41], v[40:41], 0.5, v[34:35] op_sel_hi:[1,0,1] neg_lo:[1,0,0] neg_hi:[1,0,0]
	v_pk_add_f32 v[34:35], v[34:35], v[142:143]
	ds_write2_b64 v1, v[88:89], v[90:91] offset1:100
	v_sub_f32_e32 v86, v98, v3
	v_sub_f32_e32 v87, v87, v5
	v_pk_add_f32 v[88:89], v[108:109], v[102:103] neg_lo:[0,1] neg_hi:[0,1]
	v_add_u32_e32 v1, 0x800, v1
	v_pk_add_f32 v[34:35], v[34:35], v[50:51]
	v_pk_add_f32 v[50:51], v[142:143], v[50:51] neg_lo:[0,1] neg_hi:[0,1]
	ds_write2_b64 v1, v[86:87], v[88:89] offset0:144 offset1:244
	v_pk_fma_f32 v[86:87], v[50:51], s[4:5], v[40:41] op_sel:[0,0,1] op_sel_hi:[1,0,0]
	v_pk_fma_f32 v[40:41], v[50:51], s[4:5], v[40:41] op_sel:[0,0,1] op_sel_hi:[1,0,0] neg_lo:[1,0,0] neg_hi:[1,0,0]
	v_perm_b32 v1, v85, v83, s10
	s_movk_i32 s10, 0x12c0
	v_mov_b32_e32 v50, v86
	v_mov_b32_e32 v51, v41
	v_pk_mul_lo_u16 v12, v1, s10 op_sel_hi:[1,0]
	v_pk_mul_f32 v[88:89], v[50:51], 0.5 op_sel_hi:[1,0]
	v_lshlrev_b32_e32 v1, 3, v84
	v_lshrrev_b32_e32 v3, 16, v12
	v_pk_fma_f32 v[50:51], v[50:51], s[4:5], v[88:89] op_sel:[0,0,1] op_sel_hi:[1,1,0] neg_lo:[0,0,1] neg_hi:[0,0,1]
	v_add3_u32 v20, 0, v3, v1
	v_mov_b32_e32 v84, v36
	v_mov_b32_e32 v85, v77
	v_add_u32_e32 v1, 0x400, v20
	v_pk_add_f32 v[88:89], v[84:85], v[50:51]
	v_pk_add_f32 v[90:91], v[42:43], v[34:35] neg_lo:[0,1] neg_hi:[0,1]
	ds_write2_b64 v1, v[88:89], v[90:91] offset0:72 offset1:172
	v_mul_f32_e32 v1, 0x3f5db3d7, v40
	v_mul_f32_e32 v3, 0xbf5db3d7, v87
	v_fmac_f32_e32 v1, 0.5, v87
	v_fmac_f32_e32 v3, 0.5, v40
	v_and_b32_e32 v12, 0xffc0, v12
	v_pk_add_f32 v[34:35], v[42:43], v[34:35]
	v_add_f32_e32 v40, v76, v1
	v_add_f32_e32 v41, v37, v3
	v_add3_u32 v12, 0, v12, v16
	v_mul_u32_u24_e32 v16, 0x12c0, v80
	ds_write2_b64 v20, v[34:35], v[40:41] offset1:100
	v_sub_f32_e32 v34, v76, v1
	v_sub_f32_e32 v35, v37, v3
	v_mov_b32_e32 v3, v23
	v_mov_b32_e32 v33, v39
	v_add3_u32 v23, 0, v16, v17
	v_pk_add_f32 v[16:17], v[84:85], v[50:51] neg_lo:[0,1] neg_hi:[0,1]
	v_add_u32_e32 v20, 0x800, v20
	v_mov_b32_e32 v1, v29
	ds_write2_b64 v20, v[34:35], v[16:17] offset0:144 offset1:244
	v_pk_add_f32 v[16:17], v[92:93], v[6:7]
	v_pk_add_f32 v[28:29], v[6:7], v[32:33]
	v_pk_add_f32 v[6:7], v[6:7], v[32:33] neg_lo:[0,1] neg_hi:[0,1]
	v_mov_b32_e32 v31, v45
	v_mov_b32_e32 v11, v27
	v_pk_fma_f32 v[28:29], v[28:29], 0.5, v[92:93] op_sel_hi:[1,0,1] neg_lo:[1,0,0] neg_hi:[1,0,0]
	v_pk_mul_f32 v[6:7], v[6:7], s[4:5] op_sel_hi:[1,0]
	v_pk_add_f32 v[16:17], v[16:17], v[32:33]
	v_pk_add_f32 v[20:21], v[2:3], v[30:31]
	v_pk_add_f32 v[32:33], v[6:7], v[28:29] op_sel:[1,0] op_sel_hi:[0,1]
	v_pk_add_f32 v[6:7], v[28:29], v[6:7] op_sel:[0,1] op_sel_hi:[1,0] neg_lo:[0,1] neg_hi:[0,1]
	v_pk_add_f32 v[28:29], v[30:31], v[10:11]
	v_pk_add_f32 v[20:21], v[20:21], v[10:11]
	v_pk_fma_f32 v[2:3], v[28:29], 0.5, v[2:3] op_sel_hi:[1,0,1] neg_lo:[1,0,0] neg_hi:[1,0,0]
	v_pk_add_f32 v[10:11], v[30:31], v[10:11] neg_lo:[0,1] neg_hi:[0,1]
	v_mov_b32_e32 v5, v19
	v_pk_fma_f32 v[28:29], v[10:11], s[4:5], v[2:3] op_sel:[0,0,1] op_sel_hi:[1,0,0]
	v_pk_fma_f32 v[2:3], v[10:11], s[4:5], v[2:3] op_sel:[0,0,1] op_sel_hi:[1,0,0] neg_lo:[1,0,0] neg_hi:[1,0,0]
	v_mov_b32_e32 v9, v47
	v_mul_f32_e32 v27, 0x3f5db3d7, v2
	v_fmac_f32_e32 v27, 0.5, v29
	v_mul_f32_e32 v29, 0xbf5db3d7, v29
	v_fmac_f32_e32 v29, 0.5, v2
	v_mov_b32_e32 v2, v28
	v_add_f32_e32 v11, v7, v29
	v_sub_f32_e32 v31, v7, v29
	v_pk_mul_f32 v[28:29], v[2:3], 0.5 op_sel_hi:[1,0]
	v_add_f32_e32 v10, v32, v27
	v_sub_f32_e32 v30, v32, v27
	v_mov_b32_e32 v32, v6
	v_pk_fma_f32 v[2:3], v[2:3], s[4:5], v[28:29] op_sel:[0,0,1] op_sel_hi:[1,1,0] neg_lo:[0,0,1] neg_hi:[0,0,1]
	v_pk_add_f32 v[28:29], v[16:17], v[20:21]
	ds_write2_b64 v12, v[28:29], v[10:11] offset1:100
	v_pk_add_f32 v[10:11], v[32:33], v[2:3]
	v_pk_add_f32 v[16:17], v[16:17], v[20:21] neg_lo:[0,1] neg_hi:[0,1]
	v_add_u32_e32 v20, 0x400, v12
	v_mov_b32_e32 v25, v49
	ds_write2_b64 v20, v[10:11], v[16:17] offset0:72 offset1:172
	v_pk_add_f32 v[2:3], v[32:33], v[2:3] neg_lo:[0,1] neg_hi:[0,1]
	v_add_u32_e32 v10, 0x800, v12
	v_pk_add_f32 v[18:19], v[122:123], v[4:5]
	v_pk_add_f32 v[34:35], v[14:15], v[8:9]
	ds_write2_b64 v10, v[30:31], v[2:3] offset0:144 offset1:244
	v_pk_add_f32 v[2:3], v[4:5], v[24:25]
	v_pk_add_f32 v[4:5], v[4:5], v[24:25] neg_lo:[0,1] neg_hi:[0,1]
	v_pk_add_f32 v[16:17], v[8:9], v[0:1]
	v_pk_add_f32 v[34:35], v[34:35], v[0:1]
	v_pk_fma_f32 v[2:3], v[2:3], 0.5, v[122:123] op_sel_hi:[1,0,1] neg_lo:[1,0,0] neg_hi:[1,0,0]
	v_pk_mul_f32 v[4:5], v[4:5], s[4:5] op_sel_hi:[1,0]
	v_pk_fma_f32 v[14:15], v[16:17], 0.5, v[14:15] op_sel_hi:[1,0,1] neg_lo:[1,0,0] neg_hi:[1,0,0]
	v_pk_add_f32 v[0:1], v[8:9], v[0:1] neg_lo:[0,1] neg_hi:[0,1]
	v_pk_add_f32 v[10:11], v[4:5], v[2:3] op_sel:[1,0] op_sel_hi:[0,1]
	v_pk_fma_f32 v[8:9], v[0:1], s[4:5], v[14:15] op_sel:[0,0,1] op_sel_hi:[1,0,0]
	v_pk_fma_f32 v[0:1], v[0:1], s[4:5], v[14:15] op_sel:[0,0,1] op_sel_hi:[1,0,0] neg_lo:[1,0,0] neg_hi:[1,0,0]
	v_pk_add_f32 v[2:3], v[2:3], v[4:5] op_sel:[0,1] op_sel_hi:[1,0] neg_lo:[0,1] neg_hi:[0,1]
	v_mov_b32_e32 v5, v11
	v_mov_b32_e32 v14, v8
	;; [unrolled: 1-line block ×3, first 2 shown]
	v_mul_f32_e32 v11, 0xbf5db3d7, v9
	v_mov_b32_e32 v4, v2
	v_mul_f32_e32 v2, 0x3f5db3d7, v0
	v_fmac_f32_e32 v11, 0.5, v0
	v_pk_mul_f32 v[0:1], v[14:15], 0.5 op_sel_hi:[1,0]
	v_fmac_f32_e32 v2, 0.5, v9
	v_pk_fma_f32 v[0:1], v[14:15], s[4:5], v[0:1] op_sel:[0,0,1] op_sel_hi:[1,1,0] neg_lo:[0,0,1] neg_hi:[0,0,1]
	v_pk_add_f32 v[18:19], v[18:19], v[24:25]
	v_add_f32_e32 v8, v10, v2
	v_add_f32_e32 v9, v3, v11
	v_pk_add_f32 v[14:15], v[4:5], v[0:1]
	v_sub_f32_e32 v2, v10, v2
	v_sub_f32_e32 v3, v3, v11
	v_pk_add_f32 v[0:1], v[4:5], v[0:1] neg_lo:[0,1] neg_hi:[0,1]
	v_add_u32_e32 v4, 0x800, v23
	v_pk_add_f32 v[6:7], v[18:19], v[34:35]
	ds_write2_b64 v4, v[2:3], v[0:1] offset0:144 offset1:244
	v_mul_u32_u24_e32 v0, 5, v62
	ds_write2_b64 v23, v[6:7], v[8:9] offset1:100
	v_pk_add_f32 v[6:7], v[18:19], v[34:35] neg_lo:[0,1] neg_hi:[0,1]
	v_add_u32_e32 v8, 0x400, v23
	v_lshlrev_b32_e32 v12, 3, v0
	ds_write2_b64 v8, v[14:15], v[6:7] offset0:72 offset1:172
	v_lshl_add_u64 v[14:15], s[8:9], 0, v[12:13]
	v_mul_i32_i24_e32 v12, 5, v66
	v_lshl_add_u64 v[16:17], v[12:13], 3, s[8:9]
	v_mul_i32_i24_e32 v12, 5, v72
	;; [unrolled: 2-line block ×4, first 2 shown]
	s_movk_i32 s10, 0x1000
	v_lshl_add_u64 v[24:25], v[12:13], 3, s[8:9]
	v_add_co_u32_e32 v0, vcc, s10, v24
	s_waitcnt lgkmcnt(0)
	s_nop 0
	v_addc_co_u32_e32 v1, vcc, 0, v25, vcc
	s_barrier
	global_load_dwordx4 v[4:7], v[0:1], off offset:624
	v_add_co_u32_e32 v0, vcc, s10, v20
	s_nop 1
	v_addc_co_u32_e32 v1, vcc, 0, v21, vcc
	global_load_dwordx4 v[0:3], v[0:1], off offset:624
	v_add_co_u32_e32 v8, vcc, s10, v18
	s_nop 1
	v_addc_co_u32_e32 v9, vcc, 0, v19, vcc
	;; [unrolled: 4-line block ×3, first 2 shown]
	global_load_dwordx4 v[28:31], v[28:29], off offset:624
	v_add_co_u32_e32 v32, vcc, s10, v14
	s_mov_b64 s[10:11], 0x1270
	s_nop 0
	v_addc_co_u32_e32 v33, vcc, 0, v15, vcc
	global_load_dwordx4 v[32:35], v[32:33], off offset:624
	v_lshl_add_u64 v[24:25], v[24:25], 0, s[10:11]
	global_load_dwordx4 v[36:39], v[24:25], off offset:16
	v_lshl_add_u64 v[20:21], v[20:21], 0, s[10:11]
	;; [unrolled: 2-line block ×4, first 2 shown]
	global_load_dwordx4 v[48:51], v[90:91], off offset:16
	ds_read2_b64 v[80:83], v58 offset0:56 offset1:176
	ds_read2_b64 v[16:19], v69 offset0:24 offset1:144
	v_lshl_add_u64 v[92:93], v[14:15], 0, s[10:11]
	global_load_dwordx4 v[84:87], v[92:93], off offset:16
	global_load_dwordx2 v[98:99], v[20:21], off offset:32
	v_cmp_ne_u32_e32 vcc, 0, v62
	global_load_dwordx2 v[88:89], v[88:89], off offset:32
	s_waitcnt vmcnt(11) lgkmcnt(1)
	v_pk_mul_f32 v[76:77], v[80:81], v[4:5] op_sel:[0,1]
	global_load_dwordx2 v[90:91], v[90:91], off offset:32
	v_pk_fma_f32 v[14:15], v[80:81], v[4:5], v[76:77] op_sel:[0,0,1] op_sel_hi:[1,1,0] neg_lo:[0,0,1] neg_hi:[0,0,1]
	v_pk_fma_f32 v[94:95], v[80:81], v[4:5], v[76:77] op_sel:[0,0,1] op_sel_hi:[1,0,0]
	v_mov_b32_e32 v4, v7
	s_waitcnt lgkmcnt(0)
	v_pk_mul_f32 v[76:77], v[18:19], v[4:5] op_sel_hi:[1,0]
	v_mov_b32_e32 v15, v95
	v_pk_fma_f32 v[4:5], v[18:19], v[6:7], v[76:77] op_sel:[0,0,1] op_sel_hi:[1,1,0] neg_lo:[0,0,1] neg_hi:[0,0,1]
	v_pk_fma_f32 v[96:97], v[18:19], v[6:7], v[76:77] op_sel:[0,0,1] op_sel_hi:[1,0,0]
	ds_read2_b64 v[76:79], v79 offset0:72 offset1:192
	s_waitcnt vmcnt(11)
	v_mov_b32_e32 v6, v3
	v_pk_mul_f32 v[18:19], v[16:17], v[6:7] op_sel_hi:[1,0]
	v_mov_b32_e32 v5, v97
	v_pk_fma_f32 v[6:7], v[16:17], v[2:3], v[18:19] op_sel:[0,0,1] op_sel_hi:[1,1,0] neg_lo:[0,0,1] neg_hi:[0,0,1]
	v_pk_fma_f32 v[100:101], v[16:17], v[2:3], v[18:19] op_sel:[0,0,1] op_sel_hi:[1,0,0]
	s_waitcnt lgkmcnt(0)
	v_pk_mul_f32 v[16:17], v[78:79], v[0:1] op_sel:[0,1]
	v_mov_b32_e32 v7, v101
	v_pk_fma_f32 v[2:3], v[78:79], v[0:1], v[16:17] op_sel:[0,0,1] op_sel_hi:[1,1,0] neg_lo:[0,0,1] neg_hi:[0,0,1]
	v_pk_fma_f32 v[102:103], v[78:79], v[0:1], v[16:17] op_sel:[0,0,1] op_sel_hi:[1,0,0]
	ds_read2_b64 v[78:81], v59 offset0:40 offset1:160
	global_load_dwordx2 v[58:59], v[92:93], off offset:32
	s_waitcnt vmcnt(11)
	v_pk_mul_f32 v[0:1], v[76:77], v[8:9] op_sel:[0,1]
	global_load_dwordx2 v[92:93], v[24:25], off offset:32
	v_pk_fma_f32 v[18:19], v[76:77], v[8:9], v[0:1] op_sel:[0,0,1] op_sel_hi:[1,1,0] neg_lo:[0,0,1] neg_hi:[0,0,1]
	v_pk_fma_f32 v[76:77], v[76:77], v[8:9], v[0:1] op_sel:[0,0,1] op_sel_hi:[1,0,0]
	v_mov_b32_e32 v0, v11
	s_waitcnt lgkmcnt(0)
	v_pk_mul_f32 v[0:1], v[80:81], v[0:1] op_sel_hi:[1,0]
	v_add_u32_e32 v3, 0x4400, v74
	v_pk_fma_f32 v[20:21], v[80:81], v[10:11], v[0:1] op_sel:[0,0,1] op_sel_hi:[1,1,0] neg_lo:[0,0,1] neg_hi:[0,0,1]
	v_pk_fma_f32 v[80:81], v[80:81], v[10:11], v[0:1] op_sel:[0,0,1] op_sel_hi:[1,0,0]
	ds_read2_b64 v[8:11], v22 offset0:88 offset1:208
	s_waitcnt vmcnt(11)
	v_mov_b32_e32 v0, v31
	v_pk_mul_f32 v[0:1], v[78:79], v[0:1] op_sel_hi:[1,0]
	ds_read2_b64 v[22:25], v3 offset0:104 offset1:224
	v_pk_fma_f32 v[104:105], v[78:79], v[30:31], v[0:1] op_sel:[0,0,1] op_sel_hi:[1,1,0] neg_lo:[0,0,1] neg_hi:[0,0,1]
	v_pk_fma_f32 v[78:79], v[78:79], v[30:31], v[0:1] op_sel:[0,0,1] op_sel_hi:[1,0,0]
	s_waitcnt lgkmcnt(1)
	v_pk_mul_f32 v[0:1], v[10:11], v[28:29] op_sel:[0,1]
	s_waitcnt vmcnt(7)
	v_mov_b32_e32 v12, v47
	v_pk_fma_f32 v[106:107], v[10:11], v[28:29], v[0:1] op_sel:[0,0,1] op_sel_hi:[1,1,0] neg_lo:[0,0,1] neg_hi:[0,0,1]
	v_pk_fma_f32 v[108:109], v[10:11], v[28:29], v[0:1] op_sel:[0,0,1] op_sel_hi:[1,0,0]
	v_pk_mul_f32 v[0:1], v[32:33], v[8:9] op_sel:[0,1]
	v_mov_b32_e32 v107, v109
	v_pk_fma_f32 v[110:111], v[32:33], v[8:9], v[0:1] op_sel:[0,0,1] op_sel_hi:[1,1,0] neg_lo:[0,0,1] neg_hi:[0,0,1]
	v_pk_fma_f32 v[112:113], v[32:33], v[8:9], v[0:1] op_sel:[0,0,1] op_sel_hi:[1,0,0]
	v_pk_mul_f32 v[0:1], v[34:35], v[82:83] op_sel:[0,1]
	s_waitcnt lgkmcnt(0)
	v_pk_mul_f32 v[8:9], v[22:23], v[36:37] op_sel:[0,1]
	v_pk_fma_f32 v[114:115], v[34:35], v[82:83], v[0:1] op_sel:[0,0,1] op_sel_hi:[1,1,0] neg_lo:[0,0,1] neg_hi:[0,0,1]
	v_pk_fma_f32 v[82:83], v[34:35], v[82:83], v[0:1] op_sel:[0,0,1] op_sel_hi:[1,0,0]
	v_add_u32_e32 v0, 0x5400, v74
	ds_read2_b64 v[28:31], v0 offset0:72 offset1:192
	v_pk_fma_f32 v[0:1], v[22:23], v[36:37], v[8:9] op_sel:[0,0,1] op_sel_hi:[1,1,0] neg_lo:[0,0,1] neg_hi:[0,0,1]
	v_pk_fma_f32 v[36:37], v[22:23], v[36:37], v[8:9] op_sel:[0,0,1] op_sel_hi:[1,0,0]
	v_mov_b32_e32 v8, v39
	v_add_u32_e32 v1, 0x3c00, v74
	s_waitcnt lgkmcnt(0)
	v_pk_mul_f32 v[10:11], v[30:31], v[8:9] op_sel_hi:[1,0]
	v_mov_b32_e32 v111, v113
	v_pk_fma_f32 v[8:9], v[30:31], v[38:39], v[10:11] op_sel:[0,0,1] op_sel_hi:[1,1,0] neg_lo:[0,0,1] neg_hi:[0,0,1]
	v_pk_fma_f32 v[38:39], v[30:31], v[38:39], v[10:11] op_sel:[0,0,1] op_sel_hi:[1,0,0]
	ds_read2_b64 v[30:33], v1 offset0:120 offset1:240
	v_mov_b32_e32 v10, v43
	v_pk_mul_f32 v[10:11], v[28:29], v[10:11] op_sel_hi:[1,0]
	v_add_u32_e32 v1, 0x4c00, v74
	v_pk_fma_f32 v[16:17], v[28:29], v[42:43], v[10:11] op_sel:[0,0,1] op_sel_hi:[1,1,0] neg_lo:[0,0,1] neg_hi:[0,0,1]
	s_waitcnt lgkmcnt(0)
	v_pk_mul_f32 v[22:23], v[32:33], v[40:41] op_sel:[0,1]
	v_pk_fma_f32 v[42:43], v[28:29], v[42:43], v[10:11] op_sel:[0,0,1] op_sel_hi:[1,0,0]
	v_pk_fma_f32 v[10:11], v[32:33], v[40:41], v[22:23] op_sel:[0,0,1] op_sel_hi:[1,1,0] neg_lo:[0,0,1] neg_hi:[0,0,1]
	v_pk_fma_f32 v[40:41], v[32:33], v[40:41], v[22:23] op_sel:[0,0,1] op_sel_hi:[1,0,0]
	ds_read2_b64 v[32:35], v1 offset0:88 offset1:208
	v_pk_mul_f32 v[22:23], v[30:31], v[44:45] op_sel:[0,1]
	v_add_u32_e32 v1, 0x6400, v74
	v_pk_fma_f32 v[116:117], v[30:31], v[44:45], v[22:23] op_sel:[0,0,1] op_sel_hi:[1,1,0] neg_lo:[0,0,1] neg_hi:[0,0,1]
	v_pk_fma_f32 v[44:45], v[30:31], v[44:45], v[22:23] op_sel:[0,0,1] op_sel_hi:[1,0,0]
	ds_read2_b64 v[28:31], v67 offset0:8 offset1:128
	s_waitcnt lgkmcnt(1)
	v_pk_mul_f32 v[22:23], v[34:35], v[12:13] op_sel_hi:[1,0]
	s_waitcnt vmcnt(6)
	v_mov_b32_e32 v12, v51
	v_pk_fma_f32 v[118:119], v[34:35], v[46:47], v[22:23] op_sel:[0,0,1] op_sel_hi:[1,1,0] neg_lo:[0,0,1] neg_hi:[0,0,1]
	v_pk_fma_f32 v[46:47], v[34:35], v[46:47], v[22:23] op_sel:[0,0,1] op_sel_hi:[1,0,0]
	v_pk_mul_f32 v[22:23], v[32:33], v[12:13] op_sel_hi:[1,0]
	s_waitcnt vmcnt(5)
	v_mov_b32_e32 v12, v87
	v_pk_fma_f32 v[120:121], v[32:33], v[50:51], v[22:23] op_sel:[0,0,1] op_sel_hi:[1,1,0] neg_lo:[0,0,1] neg_hi:[0,0,1]
	v_pk_fma_f32 v[50:51], v[32:33], v[50:51], v[22:23] op_sel:[0,0,1] op_sel_hi:[1,0,0]
	s_waitcnt lgkmcnt(0)
	v_pk_mul_f32 v[22:23], v[30:31], v[48:49] op_sel:[0,1]
	v_mov_b32_e32 v115, v83
	v_pk_fma_f32 v[122:123], v[30:31], v[48:49], v[22:23] op_sel:[0,0,1] op_sel_hi:[1,1,0] neg_lo:[0,0,1] neg_hi:[0,0,1]
	v_pk_fma_f32 v[48:49], v[30:31], v[48:49], v[22:23] op_sel:[0,0,1] op_sel_hi:[1,0,0]
	v_pk_mul_f32 v[22:23], v[84:85], v[28:29] op_sel:[0,1]
	v_mov_b32_e32 v9, v39
	v_pk_fma_f32 v[124:125], v[84:85], v[28:29], v[22:23] op_sel:[0,0,1] op_sel_hi:[1,1,0] neg_lo:[0,0,1] neg_hi:[0,0,1]
	v_pk_fma_f32 v[84:85], v[84:85], v[28:29], v[22:23] op_sel:[0,0,1] op_sel_hi:[1,0,0]
	ds_read2_b64 v[28:31], v1 offset0:40 offset1:160
	v_add_u32_e32 v1, 0x5c00, v74
	ds_read2_b64 v[32:35], v1 offset0:56 offset1:176
	v_pk_mul_f32 v[22:23], v[24:25], v[12:13] op_sel_hi:[1,0]
	v_mov_b32_e32 v125, v85
	v_pk_fma_f32 v[126:127], v[24:25], v[86:87], v[22:23] op_sel:[0,0,1] op_sel_hi:[1,1,0] neg_lo:[0,0,1] neg_hi:[0,0,1]
	v_pk_fma_f32 v[24:25], v[24:25], v[86:87], v[22:23] op_sel:[0,0,1] op_sel_hi:[1,0,0]
	s_waitcnt vmcnt(4) lgkmcnt(1)
	v_pk_mul_f32 v[86:87], v[30:31], v[98:99] op_sel:[0,1]
	v_mov_b32_e32 v127, v25
	v_pk_fma_f32 v[22:23], v[30:31], v[98:99], v[86:87] op_sel:[0,0,1] op_sel_hi:[1,1,0] neg_lo:[0,0,1] neg_hi:[0,0,1]
	v_pk_fma_f32 v[30:31], v[30:31], v[98:99], v[86:87] op_sel:[0,0,1] op_sel_hi:[1,0,0]
	s_waitcnt vmcnt(3)
	v_pk_mul_f32 v[86:87], v[28:29], v[88:89] op_sel:[0,1]
	v_mov_b32_e32 v1, v37
	v_pk_fma_f32 v[98:99], v[28:29], v[88:89], v[86:87] op_sel:[0,0,1] op_sel_hi:[1,1,0] neg_lo:[0,0,1] neg_hi:[0,0,1]
	v_pk_fma_f32 v[28:29], v[28:29], v[88:89], v[86:87] op_sel:[0,0,1] op_sel_hi:[1,0,0]
	s_waitcnt vmcnt(2) lgkmcnt(0)
	v_pk_mul_f32 v[86:87], v[34:35], v[90:91] op_sel:[0,1]
	v_mov_b32_e32 v99, v29
	v_pk_fma_f32 v[88:89], v[34:35], v[90:91], v[86:87] op_sel:[0,0,1] op_sel_hi:[1,1,0] neg_lo:[0,0,1] neg_hi:[0,0,1]
	v_pk_fma_f32 v[34:35], v[34:35], v[90:91], v[86:87] op_sel:[0,0,1] op_sel_hi:[1,0,0]
	s_waitcnt vmcnt(1)
	v_pk_mul_f32 v[86:87], v[32:33], v[58:59] op_sel:[0,1]
	v_pk_add_f32 v[28:29], v[110:111], v[124:125]
	v_pk_fma_f32 v[90:91], v[32:33], v[58:59], v[86:87] op_sel:[0,0,1] op_sel_hi:[1,1,0] neg_lo:[0,0,1] neg_hi:[0,0,1]
	v_pk_fma_f32 v[32:33], v[32:33], v[58:59], v[86:87] op_sel:[0,0,1] op_sel_hi:[1,0,0]
	ds_read_b64 v[58:59], v74 offset:27840
	ds_read_b64 v[86:87], v54
	ds_read_b64 v[128:129], v26
	;; [unrolled: 1-line block ×3, first 2 shown]
	v_mov_b32_e32 v91, v33
	v_pk_add_f32 v[28:29], v[28:29], v[90:91]
	v_mov_b32_e32 v89, v35
	v_mov_b32_e32 v23, v31
	s_waitcnt lgkmcnt(0)
	v_pk_add_f32 v[24:25], v[130:131], v[114:115]
	ds_read_b64 v[30:31], v55
	ds_read_b64 v[32:33], v56
	v_pk_add_f32 v[24:25], v[24:25], v[126:127]
	s_waitcnt lgkmcnt(0)
	v_pk_add_f32 v[34:35], v[24:25], v[28:29]
	s_barrier
	ds_write_b64 v74, v[34:35]
	v_pk_add_f32 v[34:35], v[114:115], v[126:127]
	v_pk_add_f32 v[36:37], v[114:115], v[126:127] neg_lo:[0,1] neg_hi:[0,1]
	v_pk_fma_f32 v[34:35], v[34:35], 0.5, v[130:131] op_sel_hi:[1,0,1] neg_lo:[1,0,0] neg_hi:[1,0,0]
	v_pk_mul_f32 v[36:37], v[36:37], s[4:5] op_sel_hi:[1,0]
	v_mov_b32_e32 v11, v41
	v_pk_add_f32 v[38:39], v[36:37], v[34:35] op_sel:[1,0] op_sel_hi:[0,1]
	v_pk_add_f32 v[34:35], v[34:35], v[36:37] op_sel:[0,1] op_sel_hi:[1,0] neg_lo:[0,1] neg_hi:[0,1]
	v_pk_add_f32 v[36:37], v[124:125], v[90:91]
	v_pk_add_f32 v[40:41], v[124:125], v[90:91] neg_lo:[0,1] neg_hi:[0,1]
	v_pk_fma_f32 v[36:37], v[36:37], 0.5, v[110:111] op_sel_hi:[1,0,1] neg_lo:[1,0,0] neg_hi:[1,0,0]
	v_mov_b32_e32 v17, v43
	v_pk_fma_f32 v[42:43], v[40:41], s[4:5], v[36:37] op_sel:[0,0,1] op_sel_hi:[1,0,0]
	v_pk_fma_f32 v[36:37], v[40:41], s[4:5], v[36:37] op_sel:[0,0,1] op_sel_hi:[1,0,0] neg_lo:[1,0,0] neg_hi:[1,0,0]
	v_mul_f32_e32 v27, 0xbf5db3d7, v43
	v_mul_f32_e32 v12, 0x3f5db3d7, v36
	v_fmac_f32_e32 v12, 0.5, v43
	v_fmac_f32_e32 v27, 0.5, v36
	v_mov_b32_e32 v36, v42
	v_mov_b32_e32 v117, v45
	v_add_f32_e32 v40, v38, v12
	v_add_f32_e32 v41, v35, v27
	v_sub_f32_e32 v44, v38, v12
	v_sub_f32_e32 v45, v35, v27
	v_mov_b32_e32 v38, v34
	v_pk_mul_f32 v[34:35], v[36:37], 0.5 op_sel_hi:[1,0]
	v_pk_add_f32 v[24:25], v[24:25], v[28:29] neg_lo:[0,1] neg_hi:[0,1]
	v_pk_fma_f32 v[34:35], v[36:37], s[4:5], v[34:35] op_sel:[0,0,1] op_sel_hi:[1,1,0] neg_lo:[0,0,1] neg_hi:[0,0,1]
	v_mov_b32_e32 v105, v79
	v_pk_add_f32 v[36:37], v[38:39], v[34:35]
	v_mov_b32_e32 v123, v49
	ds_write_b64 v74, v[40:41] offset:4800
	ds_write_b64 v74, v[36:37] offset:9600
	;; [unrolled: 1-line block ×4, first 2 shown]
	v_pk_add_f32 v[24:25], v[38:39], v[34:35] neg_lo:[0,1] neg_hi:[0,1]
	v_mov_b32_e32 v121, v51
	ds_write_b64 v74, v[24:25] offset:24000
	v_pk_add_f32 v[24:25], v[32:33], v[104:105]
	v_pk_add_f32 v[28:29], v[106:107], v[122:123]
	v_pk_add_f32 v[24:25], v[24:25], v[120:121]
	v_pk_add_f32 v[28:29], v[28:29], v[88:89]
	v_pk_add_f32 v[38:39], v[122:123], v[88:89] neg_lo:[0,1] neg_hi:[0,1]
	v_pk_add_f32 v[34:35], v[24:25], v[28:29]
	ds_write_b64 v56, v[34:35]
	v_pk_add_f32 v[34:35], v[104:105], v[120:121]
	v_pk_add_f32 v[24:25], v[24:25], v[28:29] neg_lo:[0,1] neg_hi:[0,1]
	v_pk_fma_f32 v[32:33], v[34:35], 0.5, v[32:33] op_sel_hi:[1,0,1] neg_lo:[1,0,0] neg_hi:[1,0,0]
	v_pk_add_f32 v[34:35], v[104:105], v[120:121] neg_lo:[0,1] neg_hi:[0,1]
	v_mov_b32_e32 v19, v77
	v_pk_mul_f32 v[34:35], v[34:35], s[4:5] op_sel_hi:[1,0]
	v_mov_b32_e32 v21, v81
	v_pk_add_f32 v[36:37], v[34:35], v[32:33] op_sel:[1,0] op_sel_hi:[0,1]
	v_pk_add_f32 v[32:33], v[32:33], v[34:35] op_sel:[0,1] op_sel_hi:[1,0] neg_lo:[0,1] neg_hi:[0,1]
	v_pk_add_f32 v[34:35], v[122:123], v[88:89]
	v_mov_b32_e32 v119, v47
	v_pk_fma_f32 v[34:35], v[34:35], 0.5, v[106:107] op_sel_hi:[1,0,1] neg_lo:[1,0,0] neg_hi:[1,0,0]
	v_pk_add_f32 v[28:29], v[30:31], v[20:21]
	v_pk_fma_f32 v[40:41], v[38:39], s[4:5], v[34:35] op_sel:[0,0,1] op_sel_hi:[1,0,0]
	v_pk_fma_f32 v[34:35], v[38:39], s[4:5], v[34:35] op_sel:[0,0,1] op_sel_hi:[1,0,0] neg_lo:[1,0,0] neg_hi:[1,0,0]
	v_mul_f32_e32 v27, 0xbf5db3d7, v41
	v_mul_f32_e32 v12, 0x3f5db3d7, v34
	v_fmac_f32_e32 v12, 0.5, v41
	v_fmac_f32_e32 v27, 0.5, v34
	v_mov_b32_e32 v34, v40
	v_add_f32_e32 v38, v36, v12
	v_add_f32_e32 v39, v33, v27
	v_sub_f32_e32 v42, v36, v12
	v_sub_f32_e32 v43, v33, v27
	v_mov_b32_e32 v36, v32
	v_pk_mul_f32 v[32:33], v[34:35], 0.5 op_sel_hi:[1,0]
	ds_write_b64 v56, v[38:39] offset:4800
	v_pk_fma_f32 v[32:33], v[34:35], s[4:5], v[32:33] op_sel:[0,0,1] op_sel_hi:[1,1,0] neg_lo:[0,0,1] neg_hi:[0,0,1]
	v_pk_add_f32 v[28:29], v[28:29], v[118:119]
	v_pk_add_f32 v[34:35], v[36:37], v[32:33]
	ds_write_b64 v56, v[34:35] offset:9600
	ds_write_b64 v56, v[24:25] offset:14400
	;; [unrolled: 1-line block ×3, first 2 shown]
	v_pk_add_f32 v[24:25], v[36:37], v[32:33] neg_lo:[0,1] neg_hi:[0,1]
	ds_write_b64 v56, v[24:25] offset:24000
	v_pk_add_f32 v[24:25], v[18:19], v[116:117]
	v_pk_add_f32 v[34:35], v[116:117], v[98:99] neg_lo:[0,1] neg_hi:[0,1]
	v_pk_add_f32 v[24:25], v[24:25], v[98:99]
	v_mov_b32_e32 v3, v103
	v_pk_add_f32 v[32:33], v[28:29], v[24:25]
	ds_write_b64 v55, v[32:33]
	v_pk_add_f32 v[32:33], v[20:21], v[118:119]
	v_pk_add_f32 v[20:21], v[20:21], v[118:119] neg_lo:[0,1] neg_hi:[0,1]
	v_pk_fma_f32 v[30:31], v[32:33], 0.5, v[30:31] op_sel_hi:[1,0,1] neg_lo:[1,0,0] neg_hi:[1,0,0]
	v_pk_mul_f32 v[20:21], v[20:21], s[4:5] op_sel_hi:[1,0]
	v_pk_add_f32 v[24:25], v[28:29], v[24:25] neg_lo:[0,1] neg_hi:[0,1]
	v_pk_add_f32 v[32:33], v[20:21], v[30:31] op_sel:[1,0] op_sel_hi:[0,1]
	v_pk_add_f32 v[20:21], v[30:31], v[20:21] op_sel:[0,1] op_sel_hi:[1,0] neg_lo:[0,1] neg_hi:[0,1]
	v_pk_add_f32 v[30:31], v[116:117], v[98:99]
	v_pk_add_f32 v[28:29], v[86:87], v[6:7]
	v_pk_fma_f32 v[18:19], v[30:31], 0.5, v[18:19] op_sel_hi:[1,0,1] neg_lo:[1,0,0] neg_hi:[1,0,0]
	ds_write_b64 v55, v[24:25] offset:14400
	v_pk_fma_f32 v[36:37], v[34:35], s[4:5], v[18:19] op_sel:[0,0,1] op_sel_hi:[1,0,0]
	v_pk_fma_f32 v[18:19], v[34:35], s[4:5], v[18:19] op_sel:[0,0,1] op_sel_hi:[1,0,0] neg_lo:[1,0,0] neg_hi:[1,0,0]
	v_mov_b32_e32 v34, v36
	v_mov_b32_e32 v35, v19
	v_mul_f32_e32 v12, 0x3f5db3d7, v18
	v_mul_f32_e32 v27, 0xbf5db3d7, v37
	v_fmac_f32_e32 v12, 0.5, v37
	v_fmac_f32_e32 v27, 0.5, v18
	v_pk_mul_f32 v[18:19], v[34:35], 0.5 op_sel_hi:[1,0]
	v_pk_add_f32 v[24:25], v[2:3], v[10:11]
	v_pk_fma_f32 v[18:19], v[34:35], s[4:5], v[18:19] op_sel:[0,0,1] op_sel_hi:[1,1,0] neg_lo:[0,0,1] neg_hi:[0,0,1]
	v_add_f32_e32 v34, v32, v12
	v_sub_f32_e32 v32, v32, v12
	v_mov_b32_e32 v37, v33
	v_mov_b32_e32 v36, v20
	v_add_f32_e32 v35, v21, v27
	v_sub_f32_e32 v33, v21, v27
	v_pk_add_f32 v[28:29], v[28:29], v[16:17]
	v_pk_add_f32 v[24:25], v[24:25], v[22:23]
	ds_write_b64 v55, v[34:35] offset:4800
	v_pk_add_f32 v[34:35], v[36:37], v[18:19]
	ds_write_b64 v55, v[32:33] offset:19200
	v_pk_add_f32 v[32:33], v[28:29], v[24:25]
	v_pk_add_f32 v[18:19], v[36:37], v[18:19] neg_lo:[0,1] neg_hi:[0,1]
	ds_write_b64 v55, v[34:35] offset:9600
	ds_write_b64 v55, v[18:19] offset:24000
	ds_write_b64 v54, v[32:33]
	v_pk_add_f32 v[32:33], v[10:11], v[22:23]
	v_pk_add_f32 v[18:19], v[6:7], v[16:17]
	v_pk_add_f32 v[6:7], v[6:7], v[16:17] neg_lo:[0,1] neg_hi:[0,1]
	v_pk_fma_f32 v[2:3], v[32:33], 0.5, v[2:3] op_sel_hi:[1,0,1] neg_lo:[1,0,0] neg_hi:[1,0,0]
	v_pk_add_f32 v[10:11], v[10:11], v[22:23] neg_lo:[0,1] neg_hi:[0,1]
	v_pk_fma_f32 v[18:19], v[18:19], 0.5, v[86:87] op_sel_hi:[1,0,1] neg_lo:[1,0,0] neg_hi:[1,0,0]
	v_pk_mul_f32 v[6:7], v[6:7], s[4:5] op_sel_hi:[1,0]
	v_pk_fma_f32 v[22:23], v[10:11], s[4:5], v[2:3] op_sel:[0,0,1] op_sel_hi:[1,0,0]
	v_pk_fma_f32 v[2:3], v[10:11], s[4:5], v[2:3] op_sel:[0,0,1] op_sel_hi:[1,0,0] neg_lo:[1,0,0] neg_hi:[1,0,0]
	v_pk_add_f32 v[16:17], v[6:7], v[18:19] op_sel:[1,0] op_sel_hi:[0,1]
	v_pk_add_f32 v[6:7], v[18:19], v[6:7] op_sel:[0,1] op_sel_hi:[1,0] neg_lo:[0,1] neg_hi:[0,1]
	v_mov_b32_e32 v10, v22
	v_mov_b32_e32 v11, v3
	v_mul_f32_e32 v12, 0xbf5db3d7, v23
	s_waitcnt vmcnt(0)
	v_pk_mul_f32 v[132:133], v[58:59], v[92:93] op_sel:[0,1]
	v_mov_b32_e32 v18, v6
	v_mul_f32_e32 v6, 0x3f5db3d7, v2
	v_fmac_f32_e32 v12, 0.5, v2
	v_pk_mul_f32 v[2:3], v[10:11], 0.5 op_sel_hi:[1,0]
	v_pk_fma_f32 v[134:135], v[58:59], v[92:93], v[132:133] op_sel:[0,0,1] op_sel_hi:[1,1,0] neg_lo:[0,0,1] neg_hi:[0,0,1]
	v_pk_fma_f32 v[58:59], v[58:59], v[92:93], v[132:133] op_sel:[0,0,1] op_sel_hi:[1,0,0]
	v_mov_b32_e32 v19, v17
	v_fmac_f32_e32 v6, 0.5, v23
	v_pk_fma_f32 v[2:3], v[10:11], s[4:5], v[2:3] op_sel:[0,0,1] op_sel_hi:[1,1,0] neg_lo:[0,0,1] neg_hi:[0,0,1]
	v_mov_b32_e32 v135, v59
	v_pk_add_f32 v[30:31], v[128:129], v[4:5]
	v_pk_add_f32 v[20:21], v[14:15], v[0:1]
	v_add_f32_e32 v22, v16, v6
	v_add_f32_e32 v23, v7, v12
	v_pk_add_f32 v[10:11], v[18:19], v[2:3]
	v_pk_add_f32 v[30:31], v[30:31], v[8:9]
	;; [unrolled: 1-line block ×3, first 2 shown]
	ds_write_b64 v54, v[22:23] offset:4800
	ds_write_b64 v54, v[10:11] offset:9600
	v_pk_add_f32 v[10:11], v[28:29], v[24:25] neg_lo:[0,1] neg_hi:[0,1]
	v_pk_add_f32 v[2:3], v[18:19], v[2:3] neg_lo:[0,1] neg_hi:[0,1]
	v_pk_add_f32 v[34:35], v[30:31], v[20:21]
	v_sub_f32_e32 v6, v16, v6
	v_sub_f32_e32 v7, v7, v12
	ds_write_b64 v54, v[10:11] offset:14400
	ds_write_b64 v54, v[6:7] offset:19200
	;; [unrolled: 1-line block ×3, first 2 shown]
	ds_write_b64 v26, v[34:35]
	v_pk_add_f32 v[2:3], v[4:5], v[8:9]
	v_pk_add_f32 v[4:5], v[4:5], v[8:9] neg_lo:[0,1] neg_hi:[0,1]
	v_pk_add_f32 v[8:9], v[0:1], v[134:135]
	v_pk_fma_f32 v[2:3], v[2:3], 0.5, v[128:129] op_sel_hi:[1,0,1] neg_lo:[1,0,0] neg_hi:[1,0,0]
	v_pk_mul_f32 v[4:5], v[4:5], s[4:5] op_sel_hi:[1,0]
	v_pk_fma_f32 v[8:9], v[8:9], 0.5, v[14:15] op_sel_hi:[1,0,1] neg_lo:[1,0,0] neg_hi:[1,0,0]
	v_pk_add_f32 v[0:1], v[0:1], v[134:135] neg_lo:[0,1] neg_hi:[0,1]
	v_pk_add_f32 v[6:7], v[4:5], v[2:3] op_sel:[1,0] op_sel_hi:[0,1]
	v_pk_fma_f32 v[10:11], v[0:1], s[4:5], v[8:9] op_sel:[0,0,1] op_sel_hi:[1,0,0]
	v_pk_fma_f32 v[0:1], v[0:1], s[4:5], v[8:9] op_sel:[0,0,1] op_sel_hi:[1,0,0] neg_lo:[1,0,0] neg_hi:[1,0,0]
	v_pk_add_f32 v[2:3], v[2:3], v[4:5] op_sel:[0,1] op_sel_hi:[1,0] neg_lo:[0,1] neg_hi:[0,1]
	v_mov_b32_e32 v5, v7
	v_mov_b32_e32 v8, v10
	;; [unrolled: 1-line block ×3, first 2 shown]
	v_mul_f32_e32 v7, 0xbf5db3d7, v11
	v_mov_b32_e32 v4, v2
	v_mul_f32_e32 v2, 0x3f5db3d7, v0
	v_fmac_f32_e32 v7, 0.5, v0
	v_pk_mul_f32 v[0:1], v[8:9], 0.5 op_sel_hi:[1,0]
	v_fmac_f32_e32 v2, 0.5, v11
	v_pk_fma_f32 v[0:1], v[8:9], s[4:5], v[0:1] op_sel:[0,0,1] op_sel_hi:[1,1,0] neg_lo:[0,0,1] neg_hi:[0,0,1]
	v_add_f32_e32 v10, v6, v2
	v_add_f32_e32 v11, v3, v7
	v_pk_add_f32 v[8:9], v[4:5], v[0:1]
	v_sub_f32_e32 v2, v6, v2
	v_sub_f32_e32 v3, v3, v7
	v_pk_add_f32 v[6:7], v[30:31], v[20:21] neg_lo:[0,1] neg_hi:[0,1]
	v_pk_add_f32 v[0:1], v[4:5], v[0:1] neg_lo:[0,1] neg_hi:[0,1]
	ds_write_b64 v26, v[10:11] offset:4800
	ds_write_b64 v26, v[8:9] offset:9600
	;; [unrolled: 1-line block ×5, first 2 shown]
	s_waitcnt lgkmcnt(0)
	s_barrier
	ds_read_b64 v[4:5], v74
	s_add_u32 s4, s8, 0x7030
	s_addc_u32 s5, s9, 0
	v_sub_u32_e32 v6, 0, v63
                                        ; implicit-def: $vgpr2_vgpr3
                                        ; implicit-def: $vgpr1
	s_and_saveexec_b64 s[8:9], vcc
	s_xor_b64 s[8:9], exec, s[8:9]
	s_cbranch_execz .LBB0_15
; %bb.14:
	v_mov_b32_e32 v63, v13
	v_lshl_add_u64 v[0:1], v[62:63], 3, s[4:5]
	global_load_dwordx2 v[2:3], v[0:1], off
	ds_read_b64 v[0:1], v6 offset:28800
	v_mov_b32_e32 v9, 0.5
	v_mov_b32_e32 v10, v9
	s_waitcnt lgkmcnt(0)
	v_pk_add_f32 v[12:13], v[0:1], v[4:5]
	v_pk_add_f32 v[0:1], v[4:5], v[0:1] neg_lo:[0,1] neg_hi:[0,1]
	v_mov_b32_e32 v4, v13
	v_mov_b32_e32 v5, v0
	v_pk_mul_f32 v[4:5], v[4:5], 0.5 op_sel_hi:[1,0]
	s_waitcnt vmcnt(0)
	v_mov_b32_e32 v8, v3
	v_mov_b32_e32 v0, v5
	;; [unrolled: 1-line block ×4, first 2 shown]
	v_pk_mul_f32 v[0:1], v[8:9], v[0:1]
	v_pk_mul_f32 v[14:15], v[2:3], v[4:5] op_sel_hi:[0,1]
	v_pk_fma_f32 v[8:9], v[12:13], v[10:11], v[0:1]
	v_pk_fma_f32 v[10:11], v[12:13], v[10:11], v[0:1] neg_lo:[0,0,1] neg_hi:[0,0,1]
	v_add_f32_e32 v0, v14, v8
	v_sub_f32_e32 v1, v9, v15
	ds_write_b32 v74, v0
	v_pk_fma_f32 v[2:3], v[2:3], v[4:5], v[10:11] op_sel_hi:[0,1,1] neg_lo:[1,0,0] neg_hi:[1,0,0]
                                        ; implicit-def: $vgpr4_vgpr5
.LBB0_15:
	s_or_saveexec_b64 s[8:9], s[8:9]
	v_mul_i32_i24_e32 v7, 0xffffffb8, v66
	v_mul_i32_i24_e32 v8, 0xffffffb8, v72
	s_xor_b64 exec, exec, s[8:9]
	s_cbranch_execz .LBB0_17
; %bb.16:
	s_waitcnt lgkmcnt(0)
	v_mov_b32_e32 v0, v5
	v_pk_add_f32 v[0:1], v[4:5], v[0:1] neg_lo:[0,1] neg_hi:[0,1]
	v_add_f32_e32 v3, v5, v4
	v_mov_b32_e32 v1, 0
	ds_read_b32 v2, v1 offset:14404
	ds_write_b32 v74, v3
	s_waitcnt lgkmcnt(1)
	v_xor_b32_e32 v2, 0x80000000, v2
	ds_write_b32 v1, v2 offset:14404
	v_mov_b64_e32 v[2:3], v[0:1]
.LBB0_17:
	s_or_b64 exec, exec, s[8:9]
	v_mov_b32_e32 v67, 0
	s_waitcnt lgkmcnt(0)
	v_lshl_add_u64 v[4:5], v[66:67], 3, s[4:5]
	global_load_dwordx2 v[4:5], v[4:5], off
	v_mov_b32_e32 v73, v67
	v_lshl_add_u64 v[10:11], v[72:73], 3, s[4:5]
	global_load_dwordx2 v[10:11], v[10:11], off
	v_mov_b32_e32 v69, v67
	;; [unrolled: 3-line block ×3, first 2 shown]
	ds_write_b32 v74, v1 offset:4
	ds_write_b64 v6, v[2:3] offset:28800
	v_lshl_add_u64 v[2:3], v[70:71], 3, s[4:5]
	global_load_dwordx2 v[2:3], v[2:3], off
	v_add_u32_e32 v66, 0x258, v62
	v_add_u32_e32 v7, v52, v7
	v_lshl_add_u64 v[30:31], v[66:67], 3, s[4:5]
	v_add_u32_e32 v21, v53, v8
	ds_read_b64 v[8:9], v7
	ds_read_b64 v[14:15], v6 offset:27840
	global_load_dwordx2 v[30:31], v[30:31], off
	v_mov_b32_e32 v1, 0.5
	v_mov_b32_e32 v16, v1
	v_add_u32_e32 v66, 0x2d0, v62
	s_waitcnt lgkmcnt(0)
	v_pk_add_f32 v[34:35], v[8:9], v[14:15]
	v_pk_add_f32 v[8:9], v[8:9], v[14:15] neg_lo:[0,1] neg_hi:[0,1]
	v_mov_b32_e32 v14, v35
	v_mov_b32_e32 v15, v8
	v_pk_mul_f32 v[14:15], v[14:15], 0.5 op_sel_hi:[1,0]
	v_lshl_add_u64 v[32:33], v[66:67], 3, s[4:5]
	v_mov_b32_e32 v8, v15
	v_mov_b32_e32 v35, v14
	;; [unrolled: 1-line block ×4, first 2 shown]
	v_add_u32_e32 v66, 0x348, v62
	v_mov_b32_e32 v22, v1
	v_mov_b32_e32 v24, v1
	;; [unrolled: 1-line block ×3, first 2 shown]
	s_waitcnt vmcnt(4)
	v_mov_b32_e32 v0, v5
	v_mov_b32_e32 v17, v5
	v_pk_mul_f32 v[8:9], v[0:1], v[8:9]
	s_waitcnt vmcnt(3)
	v_mov_b32_e32 v0, v11
	v_pk_fma_f32 v[36:37], v[34:35], v[16:17], v[8:9]
	v_pk_fma_f32 v[8:9], v[34:35], v[16:17], v[8:9] neg_lo:[0,0,1] neg_hi:[0,0,1]
	v_pk_fma_f32 v[16:17], v[4:5], v[14:15], v[36:37]
	v_pk_fma_f32 v[34:35], v[4:5], v[14:15], v[36:37] op_sel_hi:[0,1,1] neg_lo:[1,0,0] neg_hi:[1,0,0]
	v_mov_b32_e32 v17, v35
	v_pk_fma_f32 v[4:5], v[4:5], v[14:15], v[8:9] op_sel_hi:[0,1,1] neg_lo:[1,0,0] neg_hi:[1,0,0]
	ds_write_b64 v7, v[16:17]
	ds_write_b64 v6, v[4:5] offset:27840
	ds_read_b64 v[4:5], v21
	ds_read_b64 v[8:9], v6 offset:26880
	global_load_dwordx2 v[14:15], v[32:33], off
	v_mov_b32_e32 v19, v11
	s_waitcnt vmcnt(2)
	v_mov_b32_e32 v23, v3
	s_waitcnt lgkmcnt(0)
	v_pk_add_f32 v[16:17], v[4:5], v[8:9]
	v_pk_add_f32 v[4:5], v[4:5], v[8:9] neg_lo:[0,1] neg_hi:[0,1]
	v_mov_b32_e32 v8, v17
	v_mov_b32_e32 v9, v4
	v_pk_mul_f32 v[8:9], v[8:9], 0.5 op_sel_hi:[1,0]
	s_waitcnt vmcnt(1)
	v_mov_b32_e32 v25, v31
	v_mov_b32_e32 v4, v9
	;; [unrolled: 1-line block ×3, first 2 shown]
	v_pk_mul_f32 v[4:5], v[0:1], v[4:5]
	v_mov_b32_e32 v0, v13
	v_pk_fma_f32 v[32:33], v[16:17], v[18:19], v[4:5]
	v_pk_fma_f32 v[4:5], v[16:17], v[18:19], v[4:5] neg_lo:[0,0,1] neg_hi:[0,0,1]
	v_pk_fma_f32 v[16:17], v[10:11], v[8:9], v[32:33]
	v_pk_fma_f32 v[18:19], v[10:11], v[8:9], v[32:33] op_sel_hi:[0,1,1] neg_lo:[1,0,0] neg_hi:[1,0,0]
	v_mov_b32_e32 v17, v19
	v_pk_fma_f32 v[4:5], v[10:11], v[8:9], v[4:5] op_sel_hi:[0,1,1] neg_lo:[1,0,0] neg_hi:[1,0,0]
	ds_write_b64 v21, v[16:17]
	ds_write_b64 v6, v[4:5] offset:26880
	ds_read_b64 v[4:5], v54
	ds_read_b64 v[8:9], v6 offset:25920
	v_mov_b32_e32 v21, v13
	v_lshl_add_u64 v[10:11], v[66:67], 3, s[4:5]
	global_load_dwordx2 v[10:11], v[10:11], off
	v_add_u32_e32 v66, 0x3c0, v62
	s_waitcnt lgkmcnt(0)
	v_pk_add_f32 v[16:17], v[4:5], v[8:9]
	v_pk_add_f32 v[4:5], v[4:5], v[8:9] neg_lo:[0,1] neg_hi:[0,1]
	v_mov_b32_e32 v8, v17
	v_mov_b32_e32 v9, v4
	v_pk_mul_f32 v[8:9], v[8:9], 0.5 op_sel_hi:[1,0]
	s_waitcnt vmcnt(1)
	v_mov_b32_e32 v29, v15
	v_mov_b32_e32 v4, v9
	;; [unrolled: 1-line block ×3, first 2 shown]
	v_pk_mul_f32 v[4:5], v[0:1], v[4:5]
	v_mov_b32_e32 v0, v3
	v_pk_fma_f32 v[18:19], v[16:17], v[20:21], v[4:5]
	v_pk_fma_f32 v[4:5], v[16:17], v[20:21], v[4:5] neg_lo:[0,0,1] neg_hi:[0,0,1]
	v_pk_fma_f32 v[16:17], v[12:13], v[8:9], v[18:19]
	v_pk_fma_f32 v[18:19], v[12:13], v[8:9], v[18:19] op_sel_hi:[0,1,1] neg_lo:[1,0,0] neg_hi:[1,0,0]
	v_mov_b32_e32 v17, v19
	v_pk_fma_f32 v[4:5], v[12:13], v[8:9], v[4:5] op_sel_hi:[0,1,1] neg_lo:[1,0,0] neg_hi:[1,0,0]
	ds_write_b64 v54, v[16:17]
	ds_write_b64 v6, v[4:5] offset:25920
	ds_read_b64 v[4:5], v26
	ds_read_b64 v[8:9], v6 offset:24960
	v_lshl_add_u64 v[12:13], v[66:67], 3, s[4:5]
	v_add_u32_e32 v66, 0x438, v62
	s_waitcnt lgkmcnt(0)
	v_pk_add_f32 v[16:17], v[4:5], v[8:9]
	v_pk_add_f32 v[4:5], v[4:5], v[8:9] neg_lo:[0,1] neg_hi:[0,1]
	v_mov_b32_e32 v8, v17
	v_mov_b32_e32 v9, v4
	v_pk_mul_f32 v[8:9], v[8:9], 0.5 op_sel_hi:[1,0]
	s_nop 0
	v_mov_b32_e32 v4, v9
	v_mov_b32_e32 v17, v8
	v_pk_mul_f32 v[4:5], v[0:1], v[4:5]
	v_mov_b32_e32 v0, v31
	v_pk_fma_f32 v[18:19], v[16:17], v[22:23], v[4:5]
	v_pk_fma_f32 v[4:5], v[16:17], v[22:23], v[4:5] neg_lo:[0,0,1] neg_hi:[0,0,1]
	v_pk_fma_f32 v[16:17], v[2:3], v[8:9], v[18:19]
	v_pk_fma_f32 v[18:19], v[2:3], v[8:9], v[18:19] op_sel_hi:[0,1,1] neg_lo:[1,0,0] neg_hi:[1,0,0]
	v_mov_b32_e32 v17, v19
	v_pk_fma_f32 v[2:3], v[2:3], v[8:9], v[4:5] op_sel_hi:[0,1,1] neg_lo:[1,0,0] neg_hi:[1,0,0]
	ds_write_b64 v26, v[16:17]
	ds_write_b64 v6, v[2:3] offset:24960
	ds_read_b64 v[2:3], v74 offset:4800
	ds_read_b64 v[4:5], v6 offset:24000
	global_load_dwordx2 v[8:9], v[12:13], off
	s_waitcnt lgkmcnt(0)
	v_pk_add_f32 v[12:13], v[2:3], v[4:5]
	v_pk_add_f32 v[2:3], v[2:3], v[4:5] neg_lo:[0,1] neg_hi:[0,1]
	v_mov_b32_e32 v4, v13
	v_mov_b32_e32 v5, v2
	v_pk_mul_f32 v[4:5], v[4:5], 0.5 op_sel_hi:[1,0]
	s_nop 0
	v_mov_b32_e32 v2, v5
	v_mov_b32_e32 v13, v4
	v_pk_mul_f32 v[2:3], v[0:1], v[2:3]
	v_mov_b32_e32 v0, v15
	v_pk_fma_f32 v[16:17], v[12:13], v[24:25], v[2:3]
	v_pk_fma_f32 v[2:3], v[12:13], v[24:25], v[2:3] neg_lo:[0,0,1] neg_hi:[0,0,1]
	v_pk_fma_f32 v[12:13], v[30:31], v[4:5], v[16:17]
	v_pk_fma_f32 v[16:17], v[30:31], v[4:5], v[16:17] op_sel_hi:[0,1,1] neg_lo:[1,0,0] neg_hi:[1,0,0]
	v_mov_b32_e32 v13, v17
	v_pk_fma_f32 v[2:3], v[30:31], v[4:5], v[2:3] op_sel_hi:[0,1,1] neg_lo:[1,0,0] neg_hi:[1,0,0]
	ds_write_b64 v74, v[12:13] offset:4800
	ds_write_b64 v6, v[2:3] offset:24000
	v_lshl_add_u64 v[12:13], v[66:67], 3, s[4:5]
	ds_read_b64 v[2:3], v74 offset:5760
	ds_read_b64 v[4:5], v6 offset:23040
	global_load_dwordx2 v[12:13], v[12:13], off
	v_add_u32_e32 v66, 0x4b0, v62
	s_waitcnt lgkmcnt(0)
	v_pk_add_f32 v[16:17], v[2:3], v[4:5]
	v_pk_add_f32 v[2:3], v[2:3], v[4:5] neg_lo:[0,1] neg_hi:[0,1]
	v_mov_b32_e32 v4, v17
	v_mov_b32_e32 v5, v2
	v_pk_mul_f32 v[4:5], v[4:5], 0.5 op_sel_hi:[1,0]
	s_nop 0
	v_mov_b32_e32 v2, v5
	v_mov_b32_e32 v17, v4
	v_pk_mul_f32 v[2:3], v[0:1], v[2:3]
	s_waitcnt vmcnt(2)
	v_mov_b32_e32 v0, v11
	v_pk_fma_f32 v[18:19], v[16:17], v[28:29], v[2:3]
	v_pk_fma_f32 v[2:3], v[16:17], v[28:29], v[2:3] neg_lo:[0,0,1] neg_hi:[0,0,1]
	v_pk_fma_f32 v[16:17], v[14:15], v[4:5], v[18:19]
	v_pk_fma_f32 v[18:19], v[14:15], v[4:5], v[18:19] op_sel_hi:[0,1,1] neg_lo:[1,0,0] neg_hi:[1,0,0]
	v_mov_b32_e32 v17, v19
	v_pk_fma_f32 v[2:3], v[14:15], v[4:5], v[2:3] op_sel_hi:[0,1,1] neg_lo:[1,0,0] neg_hi:[1,0,0]
	ds_write_b64 v74, v[16:17] offset:5760
	ds_write_b64 v6, v[2:3] offset:23040
	v_lshl_add_u64 v[16:17], v[66:67], 3, s[4:5]
	ds_read_b64 v[2:3], v74 offset:6720
	ds_read_b64 v[4:5], v6 offset:22080
	global_load_dwordx2 v[16:17], v[16:17], off
	v_mov_b32_e32 v18, v1
	v_mov_b32_e32 v19, v11
	v_add_u32_e32 v66, 0x528, v62
	s_waitcnt lgkmcnt(0)
	v_pk_add_f32 v[14:15], v[2:3], v[4:5]
	v_pk_add_f32 v[2:3], v[2:3], v[4:5] neg_lo:[0,1] neg_hi:[0,1]
	v_mov_b32_e32 v4, v15
	v_mov_b32_e32 v5, v2
	v_pk_mul_f32 v[4:5], v[4:5], 0.5 op_sel_hi:[1,0]
	s_nop 0
	v_mov_b32_e32 v2, v5
	v_pk_mul_f32 v[2:3], v[0:1], v[2:3]
	v_mov_b32_e32 v15, v4
	v_pk_fma_f32 v[20:21], v[14:15], v[18:19], v[2:3]
	v_pk_fma_f32 v[2:3], v[14:15], v[18:19], v[2:3] neg_lo:[0,0,1] neg_hi:[0,0,1]
	v_pk_fma_f32 v[22:23], v[10:11], v[4:5], v[20:21]
	v_pk_fma_f32 v[20:21], v[10:11], v[4:5], v[20:21] op_sel_hi:[0,1,1] neg_lo:[1,0,0] neg_hi:[1,0,0]
	v_mov_b32_e32 v23, v21
	v_pk_fma_f32 v[2:3], v[10:11], v[4:5], v[2:3] op_sel_hi:[0,1,1] neg_lo:[1,0,0] neg_hi:[1,0,0]
	ds_write_b64 v74, v[22:23] offset:6720
	ds_write_b64 v6, v[2:3] offset:22080
	v_lshl_add_u64 v[18:19], v[66:67], 3, s[4:5]
	ds_read_b64 v[2:3], v74 offset:7680
	ds_read_b64 v[4:5], v6 offset:21120
	global_load_dwordx2 v[18:19], v[18:19], off
	v_mov_b32_e32 v14, v1
	v_add_u32_e32 v66, 0x5a0, v62
	s_waitcnt lgkmcnt(0)
	v_pk_add_f32 v[10:11], v[2:3], v[4:5]
	v_pk_add_f32 v[2:3], v[2:3], v[4:5] neg_lo:[0,1] neg_hi:[0,1]
	v_mov_b32_e32 v4, v11
	v_mov_b32_e32 v5, v2
	v_pk_mul_f32 v[4:5], v[4:5], 0.5 op_sel_hi:[1,0]
	s_waitcnt vmcnt(3)
	v_mov_b32_e32 v0, v9
	v_mov_b32_e32 v2, v5
	v_pk_mul_f32 v[2:3], v[0:1], v[2:3]
	v_mov_b32_e32 v11, v4
	v_mov_b32_e32 v15, v9
	v_pk_fma_f32 v[20:21], v[10:11], v[14:15], v[2:3]
	v_pk_fma_f32 v[2:3], v[10:11], v[14:15], v[2:3] neg_lo:[0,0,1] neg_hi:[0,0,1]
	v_pk_fma_f32 v[22:23], v[8:9], v[4:5], v[20:21]
	v_pk_fma_f32 v[20:21], v[8:9], v[4:5], v[20:21] op_sel_hi:[0,1,1] neg_lo:[1,0,0] neg_hi:[1,0,0]
	v_mov_b32_e32 v23, v21
	v_pk_fma_f32 v[2:3], v[8:9], v[4:5], v[2:3] op_sel_hi:[0,1,1] neg_lo:[1,0,0] neg_hi:[1,0,0]
	ds_write_b64 v74, v[22:23] offset:7680
	ds_write_b64 v6, v[2:3] offset:21120
	v_lshl_add_u64 v[10:11], v[66:67], 3, s[4:5]
	ds_read_b64 v[2:3], v74 offset:8640
	ds_read_b64 v[4:5], v6 offset:20160
	global_load_dwordx2 v[10:11], v[10:11], off
	v_add_u32_e32 v66, 0x618, v62
	s_waitcnt lgkmcnt(0)
	v_pk_add_f32 v[8:9], v[2:3], v[4:5]
	v_pk_add_f32 v[2:3], v[2:3], v[4:5] neg_lo:[0,1] neg_hi:[0,1]
	v_mov_b32_e32 v4, v9
	v_mov_b32_e32 v5, v2
	v_pk_mul_f32 v[4:5], v[4:5], 0.5 op_sel_hi:[1,0]
	s_waitcnt vmcnt(3)
	v_mov_b32_e32 v0, v13
	v_mov_b32_e32 v2, v5
	v_pk_mul_f32 v[2:3], v[0:1], v[2:3]
	v_mov_b32_e32 v9, v4
	v_mov_b32_e32 v15, v13
	v_pk_fma_f32 v[20:21], v[8:9], v[14:15], v[2:3]
	v_pk_fma_f32 v[2:3], v[8:9], v[14:15], v[2:3] neg_lo:[0,0,1] neg_hi:[0,0,1]
	v_pk_fma_f32 v[22:23], v[12:13], v[4:5], v[20:21]
	v_pk_fma_f32 v[20:21], v[12:13], v[4:5], v[20:21] op_sel_hi:[0,1,1] neg_lo:[1,0,0] neg_hi:[1,0,0]
	v_mov_b32_e32 v23, v21
	v_pk_fma_f32 v[2:3], v[12:13], v[4:5], v[2:3] op_sel_hi:[0,1,1] neg_lo:[1,0,0] neg_hi:[1,0,0]
	ds_write_b64 v74, v[22:23] offset:8640
	ds_write_b64 v6, v[2:3] offset:20160
	v_lshl_add_u64 v[12:13], v[66:67], 3, s[4:5]
	ds_read_b64 v[2:3], v74 offset:9600
	ds_read_b64 v[4:5], v6 offset:19200
	global_load_dwordx2 v[12:13], v[12:13], off
	v_add_u32_e32 v66, 0x690, v62
	s_waitcnt lgkmcnt(0)
	v_pk_add_f32 v[8:9], v[2:3], v[4:5]
	v_pk_add_f32 v[2:3], v[2:3], v[4:5] neg_lo:[0,1] neg_hi:[0,1]
	v_mov_b32_e32 v4, v9
	v_mov_b32_e32 v5, v2
	v_pk_mul_f32 v[4:5], v[4:5], 0.5 op_sel_hi:[1,0]
	s_waitcnt vmcnt(3)
	v_mov_b32_e32 v0, v17
	v_mov_b32_e32 v2, v5
	v_pk_mul_f32 v[2:3], v[0:1], v[2:3]
	v_mov_b32_e32 v9, v4
	v_mov_b32_e32 v15, v17
	v_pk_fma_f32 v[20:21], v[8:9], v[14:15], v[2:3]
	v_pk_fma_f32 v[2:3], v[8:9], v[14:15], v[2:3] neg_lo:[0,0,1] neg_hi:[0,0,1]
	v_pk_fma_f32 v[22:23], v[16:17], v[4:5], v[20:21]
	v_pk_fma_f32 v[20:21], v[16:17], v[4:5], v[20:21] op_sel_hi:[0,1,1] neg_lo:[1,0,0] neg_hi:[1,0,0]
	v_mov_b32_e32 v23, v21
	v_pk_fma_f32 v[2:3], v[16:17], v[4:5], v[2:3] op_sel_hi:[0,1,1] neg_lo:[1,0,0] neg_hi:[1,0,0]
	ds_write_b64 v74, v[22:23] offset:9600
	ds_write_b64 v6, v[2:3] offset:19200
	v_lshl_add_u64 v[14:15], v[66:67], 3, s[4:5]
	ds_read_b64 v[2:3], v74 offset:10560
	ds_read_b64 v[4:5], v6 offset:18240
	global_load_dwordx2 v[14:15], v[14:15], off
	v_mov_b32_e32 v16, v1
	s_waitcnt lgkmcnt(0)
	v_pk_add_f32 v[8:9], v[2:3], v[4:5]
	v_pk_add_f32 v[2:3], v[2:3], v[4:5] neg_lo:[0,1] neg_hi:[0,1]
	v_mov_b32_e32 v4, v9
	v_mov_b32_e32 v5, v2
	v_pk_mul_f32 v[4:5], v[4:5], 0.5 op_sel_hi:[1,0]
	s_waitcnt vmcnt(3)
	v_mov_b32_e32 v0, v19
	v_mov_b32_e32 v2, v5
	v_pk_mul_f32 v[2:3], v[0:1], v[2:3]
	v_mov_b32_e32 v9, v4
	v_mov_b32_e32 v17, v19
	v_pk_fma_f32 v[20:21], v[8:9], v[16:17], v[2:3]
	v_pk_fma_f32 v[2:3], v[8:9], v[16:17], v[2:3] neg_lo:[0,0,1] neg_hi:[0,0,1]
	v_pk_fma_f32 v[22:23], v[18:19], v[4:5], v[20:21]
	v_pk_fma_f32 v[20:21], v[18:19], v[4:5], v[20:21] op_sel_hi:[0,1,1] neg_lo:[1,0,0] neg_hi:[1,0,0]
	v_mov_b32_e32 v23, v21
	v_pk_fma_f32 v[2:3], v[18:19], v[4:5], v[2:3] op_sel_hi:[0,1,1] neg_lo:[1,0,0] neg_hi:[1,0,0]
	ds_write_b64 v74, v[22:23] offset:10560
	ds_write_b64 v6, v[2:3] offset:18240
	ds_read_b64 v[2:3], v74 offset:11520
	ds_read_b64 v[4:5], v6 offset:17280
	s_waitcnt lgkmcnt(0)
	v_pk_add_f32 v[8:9], v[2:3], v[4:5]
	v_pk_add_f32 v[2:3], v[2:3], v[4:5] neg_lo:[0,1] neg_hi:[0,1]
	v_mov_b32_e32 v4, v9
	v_mov_b32_e32 v5, v2
	v_pk_mul_f32 v[4:5], v[4:5], 0.5 op_sel_hi:[1,0]
	s_waitcnt vmcnt(2)
	v_mov_b32_e32 v0, v11
	v_mov_b32_e32 v2, v5
	v_pk_mul_f32 v[2:3], v[0:1], v[2:3]
	v_mov_b32_e32 v9, v4
	v_mov_b32_e32 v17, v11
	v_pk_fma_f32 v[18:19], v[8:9], v[16:17], v[2:3]
	v_pk_fma_f32 v[2:3], v[8:9], v[16:17], v[2:3] neg_lo:[0,0,1] neg_hi:[0,0,1]
	v_pk_fma_f32 v[20:21], v[10:11], v[4:5], v[18:19]
	v_pk_fma_f32 v[18:19], v[10:11], v[4:5], v[18:19] op_sel_hi:[0,1,1] neg_lo:[1,0,0] neg_hi:[1,0,0]
	v_mov_b32_e32 v21, v19
	v_pk_fma_f32 v[2:3], v[10:11], v[4:5], v[2:3] op_sel_hi:[0,1,1] neg_lo:[1,0,0] neg_hi:[1,0,0]
	ds_write_b64 v74, v[20:21] offset:11520
	ds_write_b64 v6, v[2:3] offset:17280
	ds_read_b64 v[2:3], v74 offset:12480
	ds_read_b64 v[4:5], v6 offset:16320
	v_mov_b32_e32 v10, v1
	s_waitcnt lgkmcnt(0)
	v_pk_add_f32 v[8:9], v[2:3], v[4:5]
	v_pk_add_f32 v[2:3], v[2:3], v[4:5] neg_lo:[0,1] neg_hi:[0,1]
	v_mov_b32_e32 v4, v9
	v_mov_b32_e32 v5, v2
	v_pk_mul_f32 v[4:5], v[4:5], 0.5 op_sel_hi:[1,0]
	s_waitcnt vmcnt(1)
	v_mov_b32_e32 v0, v13
	v_mov_b32_e32 v2, v5
	v_pk_mul_f32 v[2:3], v[0:1], v[2:3]
	v_mov_b32_e32 v9, v4
	v_mov_b32_e32 v11, v13
	v_pk_fma_f32 v[16:17], v[8:9], v[10:11], v[2:3]
	v_pk_fma_f32 v[2:3], v[8:9], v[10:11], v[2:3] neg_lo:[0,0,1] neg_hi:[0,0,1]
	v_pk_fma_f32 v[18:19], v[12:13], v[4:5], v[16:17]
	v_pk_fma_f32 v[16:17], v[12:13], v[4:5], v[16:17] op_sel_hi:[0,1,1] neg_lo:[1,0,0] neg_hi:[1,0,0]
	v_mov_b32_e32 v19, v17
	v_pk_fma_f32 v[2:3], v[12:13], v[4:5], v[2:3] op_sel_hi:[0,1,1] neg_lo:[1,0,0] neg_hi:[1,0,0]
	ds_write_b64 v74, v[18:19] offset:12480
	ds_write_b64 v6, v[2:3] offset:16320
	ds_read_b64 v[2:3], v74 offset:13440
	ds_read_b64 v[4:5], v6 offset:15360
	s_waitcnt lgkmcnt(0)
	v_pk_add_f32 v[8:9], v[2:3], v[4:5]
	v_pk_add_f32 v[2:3], v[2:3], v[4:5] neg_lo:[0,1] neg_hi:[0,1]
	v_mov_b32_e32 v4, v9
	v_mov_b32_e32 v5, v2
	v_pk_mul_f32 v[4:5], v[4:5], 0.5 op_sel_hi:[1,0]
	s_waitcnt vmcnt(0)
	v_mov_b32_e32 v0, v15
	v_mov_b32_e32 v2, v5
	v_pk_mul_f32 v[2:3], v[0:1], v[2:3]
	v_mov_b32_e32 v9, v4
	v_mov_b32_e32 v0, v1
	;; [unrolled: 1-line block ×3, first 2 shown]
	v_pk_fma_f32 v[10:11], v[8:9], v[0:1], v[2:3]
	v_pk_fma_f32 v[0:1], v[8:9], v[0:1], v[2:3] neg_lo:[0,0,1] neg_hi:[0,0,1]
	v_pk_fma_f32 v[12:13], v[14:15], v[4:5], v[10:11]
	v_pk_fma_f32 v[10:11], v[14:15], v[4:5], v[10:11] op_sel_hi:[0,1,1] neg_lo:[1,0,0] neg_hi:[1,0,0]
	v_mov_b32_e32 v13, v11
	v_pk_fma_f32 v[0:1], v[14:15], v[4:5], v[0:1] op_sel_hi:[0,1,1] neg_lo:[1,0,0] neg_hi:[1,0,0]
	ds_write_b64 v74, v[12:13] offset:13440
	ds_write_b64 v6, v[0:1] offset:15360
	s_waitcnt lgkmcnt(0)
	s_barrier
	s_and_saveexec_b64 s[4:5], s[0:1]
	s_cbranch_execz .LBB0_20
; %bb.18:
	v_mul_lo_u32 v2, s3, v64
	v_mul_lo_u32 v3, s2, v65
	v_mad_u64_u32 v[0:1], s[0:1], s2, v64, 0
	v_lshl_add_u32 v10, v62, 3, 0
	v_add3_u32 v1, v1, v3, v2
	ds_read2_b64 v[2:5], v10 offset1:120
	v_lshl_add_u64 v[0:1], v[0:1], 3, s[6:7]
	v_mov_b32_e32 v63, v67
	v_lshl_add_u64 v[0:1], v[60:61], 3, v[0:1]
	v_lshl_add_u64 v[6:7], v[62:63], 3, v[0:1]
	s_waitcnt lgkmcnt(0)
	global_store_dwordx2 v[6:7], v[2:3], off
	v_add_u32_e32 v2, 0x400, v10
	ds_read2_b64 v[6:9], v2 offset0:112 offset1:232
	v_add_u32_e32 v66, 0x78, v62
	v_lshl_add_u64 v[2:3], v[66:67], 3, v[0:1]
	v_add_u32_e32 v66, 0xf0, v62
	global_store_dwordx2 v[2:3], v[4:5], off
	v_lshl_add_u64 v[2:3], v[66:67], 3, v[0:1]
	s_waitcnt lgkmcnt(0)
	global_store_dwordx2 v[2:3], v[6:7], off
	v_add_u32_e32 v2, 0xc00, v10
	ds_read2_b64 v[2:5], v2 offset0:96 offset1:216
	v_add_u32_e32 v66, 0x168, v62
	v_lshl_add_u64 v[6:7], v[66:67], 3, v[0:1]
	v_add_u32_e32 v66, 0x1e0, v62
	global_store_dwordx2 v[6:7], v[8:9], off
	;; [unrolled: 9-line block ×14, first 2 shown]
	v_lshl_add_u64 v[6:7], v[66:67], 3, v[0:1]
	v_add_u32_e32 v66, 0xd98, v62
	s_movk_i32 s0, 0x77
	s_waitcnt lgkmcnt(0)
	global_store_dwordx2 v[6:7], v[2:3], off
	v_lshl_add_u64 v[2:3], v[66:67], 3, v[0:1]
	v_cmp_eq_u32_e32 vcc, s0, v62
	global_store_dwordx2 v[2:3], v[4:5], off
	s_and_b64 exec, exec, vcc
	s_cbranch_execz .LBB0_20
; %bb.19:
	v_mov_b32_e32 v2, 0
	ds_read_b64 v[2:3], v2 offset:28800
	v_add_co_u32_e32 v0, vcc, 0x7000, v0
	s_nop 1
	v_addc_co_u32_e32 v1, vcc, 0, v1, vcc
	s_waitcnt lgkmcnt(0)
	global_store_dwordx2 v[0:1], v[2:3], off offset:128
.LBB0_20:
	s_endpgm
	.section	.rodata,"a",@progbits
	.p2align	6, 0x0
	.amdhsa_kernel fft_rtc_fwd_len3600_factors_10_10_6_6_wgs_120_tpt_120_halfLds_sp_op_CI_CI_unitstride_sbrr_R2C_dirReg
		.amdhsa_group_segment_fixed_size 0
		.amdhsa_private_segment_fixed_size 0
		.amdhsa_kernarg_size 104
		.amdhsa_user_sgpr_count 2
		.amdhsa_user_sgpr_dispatch_ptr 0
		.amdhsa_user_sgpr_queue_ptr 0
		.amdhsa_user_sgpr_kernarg_segment_ptr 1
		.amdhsa_user_sgpr_dispatch_id 0
		.amdhsa_user_sgpr_kernarg_preload_length 0
		.amdhsa_user_sgpr_kernarg_preload_offset 0
		.amdhsa_user_sgpr_private_segment_size 0
		.amdhsa_uses_dynamic_stack 0
		.amdhsa_enable_private_segment 0
		.amdhsa_system_sgpr_workgroup_id_x 1
		.amdhsa_system_sgpr_workgroup_id_y 0
		.amdhsa_system_sgpr_workgroup_id_z 0
		.amdhsa_system_sgpr_workgroup_info 0
		.amdhsa_system_vgpr_workitem_id 0
		.amdhsa_next_free_vgpr 160
		.amdhsa_next_free_sgpr 28
		.amdhsa_accum_offset 160
		.amdhsa_reserve_vcc 1
		.amdhsa_float_round_mode_32 0
		.amdhsa_float_round_mode_16_64 0
		.amdhsa_float_denorm_mode_32 3
		.amdhsa_float_denorm_mode_16_64 3
		.amdhsa_dx10_clamp 1
		.amdhsa_ieee_mode 1
		.amdhsa_fp16_overflow 0
		.amdhsa_tg_split 0
		.amdhsa_exception_fp_ieee_invalid_op 0
		.amdhsa_exception_fp_denorm_src 0
		.amdhsa_exception_fp_ieee_div_zero 0
		.amdhsa_exception_fp_ieee_overflow 0
		.amdhsa_exception_fp_ieee_underflow 0
		.amdhsa_exception_fp_ieee_inexact 0
		.amdhsa_exception_int_div_zero 0
	.end_amdhsa_kernel
	.text
.Lfunc_end0:
	.size	fft_rtc_fwd_len3600_factors_10_10_6_6_wgs_120_tpt_120_halfLds_sp_op_CI_CI_unitstride_sbrr_R2C_dirReg, .Lfunc_end0-fft_rtc_fwd_len3600_factors_10_10_6_6_wgs_120_tpt_120_halfLds_sp_op_CI_CI_unitstride_sbrr_R2C_dirReg
                                        ; -- End function
	.section	.AMDGPU.csdata,"",@progbits
; Kernel info:
; codeLenInByte = 17844
; NumSgprs: 34
; NumVgprs: 160
; NumAgprs: 0
; TotalNumVgprs: 160
; ScratchSize: 0
; MemoryBound: 0
; FloatMode: 240
; IeeeMode: 1
; LDSByteSize: 0 bytes/workgroup (compile time only)
; SGPRBlocks: 4
; VGPRBlocks: 19
; NumSGPRsForWavesPerEU: 34
; NumVGPRsForWavesPerEU: 160
; AccumOffset: 160
; Occupancy: 3
; WaveLimiterHint : 1
; COMPUTE_PGM_RSRC2:SCRATCH_EN: 0
; COMPUTE_PGM_RSRC2:USER_SGPR: 2
; COMPUTE_PGM_RSRC2:TRAP_HANDLER: 0
; COMPUTE_PGM_RSRC2:TGID_X_EN: 1
; COMPUTE_PGM_RSRC2:TGID_Y_EN: 0
; COMPUTE_PGM_RSRC2:TGID_Z_EN: 0
; COMPUTE_PGM_RSRC2:TIDIG_COMP_CNT: 0
; COMPUTE_PGM_RSRC3_GFX90A:ACCUM_OFFSET: 39
; COMPUTE_PGM_RSRC3_GFX90A:TG_SPLIT: 0
	.text
	.p2alignl 6, 3212836864
	.fill 256, 4, 3212836864
	.type	__hip_cuid_491b1b27d064bfcd,@object ; @__hip_cuid_491b1b27d064bfcd
	.section	.bss,"aw",@nobits
	.globl	__hip_cuid_491b1b27d064bfcd
__hip_cuid_491b1b27d064bfcd:
	.byte	0                               ; 0x0
	.size	__hip_cuid_491b1b27d064bfcd, 1

	.ident	"AMD clang version 19.0.0git (https://github.com/RadeonOpenCompute/llvm-project roc-6.4.0 25133 c7fe45cf4b819c5991fe208aaa96edf142730f1d)"
	.section	".note.GNU-stack","",@progbits
	.addrsig
	.addrsig_sym __hip_cuid_491b1b27d064bfcd
	.amdgpu_metadata
---
amdhsa.kernels:
  - .agpr_count:     0
    .args:
      - .actual_access:  read_only
        .address_space:  global
        .offset:         0
        .size:           8
        .value_kind:     global_buffer
      - .offset:         8
        .size:           8
        .value_kind:     by_value
      - .actual_access:  read_only
        .address_space:  global
        .offset:         16
        .size:           8
        .value_kind:     global_buffer
      - .actual_access:  read_only
        .address_space:  global
        .offset:         24
        .size:           8
        .value_kind:     global_buffer
      - .actual_access:  read_only
        .address_space:  global
        .offset:         32
        .size:           8
        .value_kind:     global_buffer
      - .offset:         40
        .size:           8
        .value_kind:     by_value
      - .actual_access:  read_only
        .address_space:  global
        .offset:         48
        .size:           8
        .value_kind:     global_buffer
      - .actual_access:  read_only
        .address_space:  global
        .offset:         56
        .size:           8
        .value_kind:     global_buffer
      - .offset:         64
        .size:           4
        .value_kind:     by_value
      - .actual_access:  read_only
        .address_space:  global
        .offset:         72
        .size:           8
        .value_kind:     global_buffer
      - .actual_access:  read_only
        .address_space:  global
        .offset:         80
        .size:           8
        .value_kind:     global_buffer
      - .actual_access:  read_only
        .address_space:  global
        .offset:         88
        .size:           8
        .value_kind:     global_buffer
      - .actual_access:  write_only
        .address_space:  global
        .offset:         96
        .size:           8
        .value_kind:     global_buffer
    .group_segment_fixed_size: 0
    .kernarg_segment_align: 8
    .kernarg_segment_size: 104
    .language:       OpenCL C
    .language_version:
      - 2
      - 0
    .max_flat_workgroup_size: 120
    .name:           fft_rtc_fwd_len3600_factors_10_10_6_6_wgs_120_tpt_120_halfLds_sp_op_CI_CI_unitstride_sbrr_R2C_dirReg
    .private_segment_fixed_size: 0
    .sgpr_count:     34
    .sgpr_spill_count: 0
    .symbol:         fft_rtc_fwd_len3600_factors_10_10_6_6_wgs_120_tpt_120_halfLds_sp_op_CI_CI_unitstride_sbrr_R2C_dirReg.kd
    .uniform_work_group_size: 1
    .uses_dynamic_stack: false
    .vgpr_count:     160
    .vgpr_spill_count: 0
    .wavefront_size: 64
amdhsa.target:   amdgcn-amd-amdhsa--gfx950
amdhsa.version:
  - 1
  - 2
...

	.end_amdgpu_metadata
